;; amdgpu-corpus repo=ROCm/Tensile kind=harvested arch=n/a opt=n/a

/******************************************/
/* Function Prefix                        */
/******************************************/



/******************************************/
/* Begin Kernel                           */
/******************************************/

// Component.Signature.SignatureDefault
.amdgcn_target "amdgcn-amd-amdhsa--gfx90a"
.text
.protected Cijk_Ailk_Bjlk_HSS_BH_MT256x128x16_MI32x32x8x1_SN_1LDSB0_APM1_ABV0_ACED0_AF0EM1_AF1EM1_AMAS0_ASE_ASGT_ASLT_ASEM1_AAC0_BL1_BS1_CLR0_DTVA0_DVO0_ETSP_EPS1_EMLL0_FL0_GLVWA8_GLVWB8_GRPM1_GRVW8_GSU1_GSUASB_GLS0_ISA90a_IU1_K1_KLA_LBSPPA0_LBSPPB0_LPA0_LPB0_LDL1_LRVW4_LWPMn1_LDW0_FMA_MIAV1_MO40_MMFGLC_NTA0_NTB0_NTC3_NTD3_NEPBS0_NLCA1_NLCB1_ONLL1_OPLV0_PK0_PAP0_PGR2_PLR1_SIA3_SS1_SU0_SUM0_SUS0_SCIUI1_SPO1_SRVW0_SSO2_SVW1_SNLL0_TSGRA0_TSGRB0_TT2_128_TLDS0_UMLDSA0_UMLDSB0_USFGROn1_VAW1_VSn1_VW1_VWB1_VFLRP0_WSGRA0_WSGRB0_WG128_2_1_WGM8
.globl Cijk_Ailk_Bjlk_HSS_BH_MT256x128x16_MI32x32x8x1_SN_1LDSB0_APM1_ABV0_ACED0_AF0EM1_AF1EM1_AMAS0_ASE_ASGT_ASLT_ASEM1_AAC0_BL1_BS1_CLR0_DTVA0_DVO0_ETSP_EPS1_EMLL0_FL0_GLVWA8_GLVWB8_GRPM1_GRVW8_GSU1_GSUASB_GLS0_ISA90a_IU1_K1_KLA_LBSPPA0_LBSPPB0_LPA0_LPB0_LDL1_LRVW4_LWPMn1_LDW0_FMA_MIAV1_MO40_MMFGLC_NTA0_NTB0_NTC3_NTD3_NEPBS0_NLCA1_NLCB1_ONLL1_OPLV0_PK0_PAP0_PGR2_PLR1_SIA3_SS1_SU0_SUM0_SUS0_SCIUI1_SPO1_SRVW0_SSO2_SVW1_SNLL0_TSGRA0_TSGRB0_TT2_128_TLDS0_UMLDSA0_UMLDSB0_USFGROn1_VAW1_VSn1_VW1_VWB1_VFLRP0_WSGRA0_WSGRB0_WG128_2_1_WGM8
.p2align 8
.type Cijk_Ailk_Bjlk_HSS_BH_MT256x128x16_MI32x32x8x1_SN_1LDSB0_APM1_ABV0_ACED0_AF0EM1_AF1EM1_AMAS0_ASE_ASGT_ASLT_ASEM1_AAC0_BL1_BS1_CLR0_DTVA0_DVO0_ETSP_EPS1_EMLL0_FL0_GLVWA8_GLVWB8_GRPM1_GRVW8_GSU1_GSUASB_GLS0_ISA90a_IU1_K1_KLA_LBSPPA0_LBSPPB0_LPA0_LPB0_LDL1_LRVW4_LWPMn1_LDW0_FMA_MIAV1_MO40_MMFGLC_NTA0_NTB0_NTC3_NTD3_NEPBS0_NLCA1_NLCB1_ONLL1_OPLV0_PK0_PAP0_PGR2_PLR1_SIA3_SS1_SU0_SUM0_SUS0_SCIUI1_SPO1_SRVW0_SSO2_SVW1_SNLL0_TSGRA0_TSGRB0_TT2_128_TLDS0_UMLDSA0_UMLDSB0_USFGROn1_VAW1_VSn1_VW1_VWB1_VFLRP0_WSGRA0_WSGRB0_WG128_2_1_WGM8,@function
.section .rodata,#alloc
.p2align 6
.amdhsa_kernel Cijk_Ailk_Bjlk_HSS_BH_MT256x128x16_MI32x32x8x1_SN_1LDSB0_APM1_ABV0_ACED0_AF0EM1_AF1EM1_AMAS0_ASE_ASGT_ASLT_ASEM1_AAC0_BL1_BS1_CLR0_DTVA0_DVO0_ETSP_EPS1_EMLL0_FL0_GLVWA8_GLVWB8_GRPM1_GRVW8_GSU1_GSUASB_GLS0_ISA90a_IU1_K1_KLA_LBSPPA0_LBSPPB0_LPA0_LPB0_LDL1_LRVW4_LWPMn1_LDW0_FMA_MIAV1_MO40_MMFGLC_NTA0_NTB0_NTC3_NTD3_NEPBS0_NLCA1_NLCB1_ONLL1_OPLV0_PK0_PAP0_PGR2_PLR1_SIA3_SS1_SU0_SUM0_SUS0_SCIUI1_SPO1_SRVW0_SSO2_SVW1_SNLL0_TSGRA0_TSGRB0_TT2_128_TLDS0_UMLDSA0_UMLDSB0_USFGROn1_VAW1_VSn1_VW1_VWB1_VFLRP0_WSGRA0_WSGRB0_WG128_2_1_WGM8
  .amdhsa_user_sgpr_kernarg_segment_ptr 1
  .amdhsa_user_sgpr_kernarg_preload_offset 0
  .amdhsa_user_sgpr_kernarg_preload_length 0
  .amdhsa_user_sgpr_count 2
  .amdhsa_accum_offset 256 // accvgpr offset
  .amdhsa_next_free_vgpr 256 // vgprs
  .amdhsa_next_free_sgpr 58 // sgprs
  .amdhsa_group_segment_fixed_size 28672 // lds bytes
  .amdhsa_private_segment_fixed_size 0
  .amdhsa_system_sgpr_workgroup_id_x 1
  .amdhsa_system_sgpr_workgroup_id_y 1
  .amdhsa_system_sgpr_workgroup_id_z 1
  .amdhsa_system_vgpr_workitem_id 0
  .amdhsa_float_denorm_mode_32 3
  .amdhsa_float_denorm_mode_16_64 3
.end_amdhsa_kernel
.text

/******************************************/
/* Optimizations and Config:              */
/******************************************/
/* ThreadTile= 32 x 4 */
/* SubGroup= 8 x 32 */
/* VectorWidthA=1 */
/* VectorWidthB=1 */
/* GlobalLoadVectorWidthA=8, GlobalLoadVectorWidthB=8 */
/* DirectToLdsA=False */
/* DirectToLdsB=False */
/* UseSgprForGRO=False */
.amdgpu_metadata
---
amdhsa.version:
  - 1
  - 1
amdhsa.target: amdgcn-amd-amdhsa--gfx90a
amdhsa.kernels:
  - .name: Cijk_Ailk_Bjlk_HSS_BH_MT256x128x16_MI32x32x8x1_SN_1LDSB0_APM1_ABV0_ACED0_AF0EM1_AF1EM1_AMAS0_ASE_ASGT_ASLT_ASEM1_AAC0_BL1_BS1_CLR0_DTVA0_DVO0_ETSP_EPS1_EMLL0_FL0_GLVWA8_GLVWB8_GRPM1_GRVW8_GSU1_GSUASB_GLS0_ISA90a_IU1_K1_KLA_LBSPPA0_LBSPPB0_LPA0_LPB0_LDL1_LRVW4_LWPMn1_LDW0_FMA_MIAV1_MO40_MMFGLC_NTA0_NTB0_NTC3_NTD3_NEPBS0_NLCA1_NLCB1_ONLL1_OPLV0_PK0_PAP0_PGR2_PLR1_SIA3_SS1_SU0_SUM0_SUS0_SCIUI1_SPO1_SRVW0_SSO2_SVW1_SNLL0_TSGRA0_TSGRB0_TT2_128_TLDS0_UMLDSA0_UMLDSB0_USFGROn1_VAW1_VSn1_VW1_VWB1_VFLRP0_WSGRA0_WSGRB0_WG128_2_1_WGM8
    .symbol: 'Cijk_Ailk_Bjlk_HSS_BH_MT256x128x16_MI32x32x8x1_SN_1LDSB0_APM1_ABV0_ACED0_AF0EM1_AF1EM1_AMAS0_ASE_ASGT_ASLT_ASEM1_AAC0_BL1_BS1_CLR0_DTVA0_DVO0_ETSP_EPS1_EMLL0_FL0_GLVWA8_GLVWB8_GRPM1_GRVW8_GSU1_GSUASB_GLS0_ISA90a_IU1_K1_KLA_LBSPPA0_LBSPPB0_LPA0_LPB0_LDL1_LRVW4_LWPMn1_LDW0_FMA_MIAV1_MO40_MMFGLC_NTA0_NTB0_NTC3_NTD3_NEPBS0_NLCA1_NLCB1_ONLL1_OPLV0_PK0_PAP0_PGR2_PLR1_SIA3_SS1_SU0_SUM0_SUS0_SCIUI1_SPO1_SRVW0_SSO2_SVW1_SNLL0_TSGRA0_TSGRB0_TT2_128_TLDS0_UMLDSA0_UMLDSB0_USFGROn1_VAW1_VSn1_VW1_VWB1_VFLRP0_WSGRA0_WSGRB0_WG128_2_1_WGM8.kd'
    .language:                   OpenCL C
    .language_version:
      - 2
      - 0
    .args:
      - .name:            Tensor2dSizeA
        .size:            8
        .offset:          0
        .value_kind:      by_value
        .value_type:      u64
      - .name:            Tensor2dSizeB
        .size:            8
        .offset:          8
        .value_kind:      by_value
        .value_type:      u64
      - .name:            AddressD
        .size:            8
        .offset:          16
        .value_kind:      by_value
        .value_type:      u64
      - .name:            AddressC
        .size:            8
        .offset:          24
        .value_kind:      by_value
        .value_type:      u64
      - .name:            AddressA
        .size:            8
        .offset:          32
        .value_kind:      by_value
        .value_type:      u64
      - .name:            AddressB
        .size:            8
        .offset:          40
        .value_kind:      by_value
        .value_type:      u64
      - .name:            Alpha
        .size:            4
        .offset:          48
        .value_kind:      by_value
        .value_type:      u32
      - .name:            Beta
        .size:            4
        .offset:          52
        .value_kind:      by_value
        .value_type:      u32
      - .name:            StridesD
        .size:            8
        .offset:          56
        .value_kind:      by_value
        .value_type:      u64
      - .name:            StridesC
        .size:            8
        .offset:          64
        .value_kind:      by_value
        .value_type:      u64
      - .name:            StridesA
        .size:            8
        .offset:          72
        .value_kind:      by_value
        .value_type:      u64
      - .name:            StridesB
        .size:            8
        .offset:          80
        .value_kind:      by_value
        .value_type:      u64
      - .name:            SizesFree
        .size:            12
        .offset:          88
        .value_kind:      by_value
        .value_type:      u96
      - .name:            SizesSum
        .size:            4
        .offset:          100
        .value_kind:      by_value
        .value_type:      u32
      - .name:            NumWorkGroups0
        .size:            4
        .offset:          104
        .value_kind:      by_value
        .value_type:      u32
      - .name:            NumWorkGroups1
        .size:            4
        .offset:          108
        .value_kind:      by_value
        .value_type:      u32
      - .name:            NumFullBlocks
        .size:            4
        .offset:          112
        .value_kind:      by_value
        .value_type:      u32
      - .name:            WgmRemainder1
        .size:            4
        .offset:          116
        .value_kind:      by_value
        .value_type:      u32
      - .name:            MagicNumberWgmRemainder1
        .size:            4
        .offset:          120
        .value_kind:      by_value
        .value_type:      u32
    .group_segment_fixed_size:   28672
    .kernarg_segment_align:      8
    .kernarg_segment_size:       128
    .max_flat_workgroup_size:    256
    .private_segment_fixed_size: 0
    .sgpr_count:                 58
    .sgpr_spill_count:           0
    .vgpr_count:                 256
    .vgpr_spill_count:           0
    .wavefront_size:             64
...
.end_amdgpu_metadata
Cijk_Ailk_Bjlk_HSS_BH_MT256x128x16_MI32x32x8x1_SN_1LDSB0_APM1_ABV0_ACED0_AF0EM1_AF1EM1_AMAS0_ASE_ASGT_ASLT_ASEM1_AAC0_BL1_BS1_CLR0_DTVA0_DVO0_ETSP_EPS1_EMLL0_FL0_GLVWA8_GLVWB8_GRPM1_GRVW8_GSU1_GSUASB_GLS0_ISA90a_IU1_K1_KLA_LBSPPA0_LBSPPB0_LPA0_LPB0_LDL1_LRVW4_LWPMn1_LDW0_FMA_MIAV1_MO40_MMFGLC_NTA0_NTB0_NTC3_NTD3_NEPBS0_NLCA1_NLCB1_ONLL1_OPLV0_PK0_PAP0_PGR2_PLR1_SIA3_SS1_SU0_SUM0_SUS0_SCIUI1_SPO1_SRVW0_SSO2_SVW1_SNLL0_TSGRA0_TSGRB0_TT2_128_TLDS0_UMLDSA0_UMLDSB0_USFGROn1_VAW1_VSn1_VW1_VWB1_VFLRP0_WSGRA0_WSGRB0_WG128_2_1_WGM8:

/******************************************/
/* Asm syntax workarounds                 */
/******************************************/
.macro _v_add_co_u32 dst:req, cc:req, src0:req, src1:req, dpp=
   v_add_co_u32 \dst, \cc, \src0, \src1 \dpp
.endm

.macro _v_add_u32 dst:req, src0:req, src1:req, dpp=
   v_add_u32 \dst, \src0, \src1 \dpp
.endm

.macro _v_add_i32 dst:req, src0:req, src1:req, dpp=
   v_add_i32 \dst, \src0, \src1 \dpp
.endm

.macro _v_addc_co_u32 dst:req, ccOut:req, src0:req, ccIn:req, src1:req, dpp=
   v_addc_co_u32 \dst, \ccOut, \src0, \ccIn, \src1 \dpp
.endm

.macro _v_sub_co_u32 dst:req, cc:req, src0:req, src1:req, dpp=
   v_sub_co_u32 \dst, \cc, \src0, \src1 \dpp
.endm

.macro _v_sub_u32 dst:req, src0:req, src1:req, dpp=
   v_sub_u32 \dst, \src0, \src1 \dpp
.endm

.macro _v_sub_i32 dst:req, src0:req, src1:req, dpp=
   v_sub_i32 \dst, \src0, \src1 \dpp
.endm

.macro _v_add_lshl_u32 dst:req, src0:req, src1:req, shiftCnt:req
    v_add_lshl_u32 \dst, \src0, \src1, \shiftCnt
.endm

.macro _v_lshl_add_u32 dst:req, src0:req, src1:req, shiftCnt:req
    v_lshl_add_u32 \dst, \src0, \src1, \shiftCnt
.endm

.macro _v_lshl_or_b32 dst:req, src0:req, shiftCnt:req, src1:req
    v_lshl_or_b32 \dst, \src0, \shiftCnt, \src1
.endm

.macro _v_dot2acc_f32_f16 dst, src0, src1
v_dot2c_f32_f16 \dst, \src0, \src1
.endm

.macro _v_cmpx_lt_i16 dst, src0, src1=
   v_cmpx_lt_i16 \dst, \src0, \src1 
.endm

.macro _v_cmpx_lt_i32 dst, src0, src1=
   v_cmpx_lt_i32 \dst, \src0, \src1 
.endm

.macro _v_cmpx_lt_i64 dst, src0, src1=
   v_cmpx_lt_i64 \dst, \src0, \src1 
.endm

.macro _v_cmpx_lt_u16 dst, src0, src1=
   v_cmpx_lt_u16 \dst, \src0, \src1 
.endm

.macro _v_cmpx_lt_u32 dst, src0, src1=
   v_cmpx_lt_u32 \dst, \src0, \src1 
.endm

.macro _v_cmpx_lt_u64 dst, src0, src1=
   v_cmpx_lt_u64 \dst, \src0, \src1 
.endm

.macro _v_cmpx_eq_i16 dst, src0, src1=
   v_cmpx_eq_i16 \dst, \src0, \src1 
.endm

.macro _v_cmpx_eq_i32 dst, src0, src1=
   v_cmpx_eq_i32 \dst, \src0, \src1 
.endm

.macro _v_cmpx_eq_i64 dst, src0, src1=
   v_cmpx_eq_i64 \dst, \src0, \src1 
.endm

.macro _v_cmpx_eq_u16 dst, src0, src1=
   v_cmpx_eq_u16 \dst, \src0, \src1 
.endm

.macro _v_cmpx_eq_u32 dst, src0, src1=
   v_cmpx_eq_u32 \dst, \src0, \src1 
.endm

.macro _v_cmpx_eq_u64 dst, src0, src1=
   v_cmpx_eq_u64 \dst, \src0, \src1 
.endm

.macro _v_cmpx_le_i16 dst, src0, src1=
   v_cmpx_le_i16 \dst, \src0, \src1 
.endm

.macro _v_cmpx_le_i32 dst, src0, src1=
   v_cmpx_le_i32 \dst, \src0, \src1 
.endm

.macro _v_cmpx_le_i64 dst, src0, src1=
   v_cmpx_le_i64 \dst, \src0, \src1 
.endm

.macro _v_cmpx_le_u16 dst, src0, src1=
   v_cmpx_le_u16 \dst, \src0, \src1 
.endm

.macro _v_cmpx_le_u32 dst, src0, src1=
   v_cmpx_le_u32 \dst, \src0, \src1 
.endm

.macro _v_cmpx_le_u64 dst, src0, src1=
   v_cmpx_le_u64 \dst, \src0, \src1 
.endm

.macro _v_cmpx_gt_i16 dst, src0, src1=
   v_cmpx_gt_i16 \dst, \src0, \src1 
.endm

.macro _v_cmpx_gt_i32 dst, src0, src1=
   v_cmpx_gt_i32 \dst, \src0, \src1 
.endm

.macro _v_cmpx_gt_i64 dst, src0, src1=
   v_cmpx_gt_i64 \dst, \src0, \src1 
.endm

.macro _v_cmpx_gt_u16 dst, src0, src1=
   v_cmpx_gt_u16 \dst, \src0, \src1 
.endm

.macro _v_cmpx_gt_u32 dst, src0, src1=
   v_cmpx_gt_u32 \dst, \src0, \src1 
.endm

.macro _v_cmpx_gt_u64 dst, src0, src1=
   v_cmpx_gt_u64 \dst, \src0, \src1 
.endm

.macro _v_cmpx_ne_i16 dst, src0, src1=
   v_cmpx_ne_i16 \dst, \src0, \src1 
.endm

.macro _v_cmpx_ne_i32 dst, src0, src1=
   v_cmpx_ne_i32 \dst, \src0, \src1 
.endm

.macro _v_cmpx_ne_i64 dst, src0, src1=
   v_cmpx_ne_i64 \dst, \src0, \src1 
.endm

.macro _v_cmpx_ne_u16 dst, src0, src1=
   v_cmpx_ne_u16 \dst, \src0, \src1 
.endm

.macro _v_cmpx_ne_u32 dst, src0, src1=
   v_cmpx_ne_u32 \dst, \src0, \src1 
.endm

.macro _v_cmpx_ne_u64 dst, src0, src1=
   v_cmpx_ne_u64 \dst, \src0, \src1 
.endm

.macro _v_cmpx_lg_i16 dst, src0, src1=
   v_cmpx_lg_i16 \dst, \src0, \src1 
.endm

.macro _v_cmpx_lg_i32 dst, src0, src1=
   v_cmpx_lg_i32 \dst, \src0, \src1 
.endm

.macro _v_cmpx_lg_i64 dst, src0, src1=
   v_cmpx_lg_i64 \dst, \src0, \src1 
.endm

.macro _v_cmpx_lg_u16 dst, src0, src1=
   v_cmpx_lg_u16 \dst, \src0, \src1 
.endm

.macro _v_cmpx_lg_u32 dst, src0, src1=
   v_cmpx_lg_u32 \dst, \src0, \src1 
.endm

.macro _v_cmpx_lg_u64 dst, src0, src1=
   v_cmpx_lg_u64 \dst, \src0, \src1 
.endm

.macro _v_cmpx_ge_i16 dst, src0, src1=
   v_cmpx_ge_i16 \dst, \src0, \src1 
.endm

.macro _v_cmpx_ge_i32 dst, src0, src1=
   v_cmpx_ge_i32 \dst, \src0, \src1 
.endm

.macro _v_cmpx_ge_i64 dst, src0, src1=
   v_cmpx_ge_i64 \dst, \src0, \src1 
.endm

.macro _v_cmpx_ge_u16 dst, src0, src1=
   v_cmpx_ge_u16 \dst, \src0, \src1 
.endm

.macro _v_cmpx_ge_u32 dst, src0, src1=
   v_cmpx_ge_u32 \dst, \src0, \src1 
.endm

.macro _v_cmpx_ge_u64 dst, src0, src1=
   v_cmpx_ge_u64 \dst, \src0, \src1 
.endm

.macro _v_cmpx_o_i16 dst, src0, src1=
   v_cmpx_o_i16 \dst, \src0, \src1 
.endm

.macro _v_cmpx_o_i32 dst, src0, src1=
   v_cmpx_o_i32 \dst, \src0, \src1 
.endm

.macro _v_cmpx_o_i64 dst, src0, src1=
   v_cmpx_o_i64 \dst, \src0, \src1 
.endm

.macro _v_cmpx_o_u16 dst, src0, src1=
   v_cmpx_o_u16 \dst, \src0, \src1 
.endm

.macro _v_cmpx_o_u32 dst, src0, src1=
   v_cmpx_o_u32 \dst, \src0, \src1 
.endm

.macro _v_cmpx_o_u64 dst, src0, src1=
   v_cmpx_o_u64 \dst, \src0, \src1 
.endm

.macro _v_cmpx_u_i16 dst, src0, src1=
   v_cmpx_u_i16 \dst, \src0, \src1 
.endm

.macro _v_cmpx_u_i32 dst, src0, src1=
   v_cmpx_u_i32 \dst, \src0, \src1 
.endm

.macro _v_cmpx_u_i64 dst, src0, src1=
   v_cmpx_u_i64 \dst, \src0, \src1 
.endm

.macro _v_cmpx_u_u16 dst, src0, src1=
   v_cmpx_u_u16 \dst, \src0, \src1 
.endm

.macro _v_cmpx_u_u32 dst, src0, src1=
   v_cmpx_u_u32 \dst, \src0, \src1 
.endm

.macro _v_cmpx_u_u64 dst, src0, src1=
   v_cmpx_u_u64 \dst, \src0, \src1 
.endm
.macro _v_mac_f32 c:req, a:req, b:req
    v_fmac_f32 \c, \a, \b
.endmacro

/* scale global load macros */
.macro _s_load_b32 dst base offset
    s_load_dword \dst \base \offset
.endm

.macro _s_load_b64 dst base offset
    s_load_dwordx2 \dst \base \offset
.endm

.macro _s_load_b128 dst base offset
    s_load_dwordx4 \dst \base \offset
.endm

.macro _s_load_b256 dst base offset
    s_load_dwordx8 \dst \base \offset
.endm

.macro _s_load_b512 dst base offset
    s_load_dwordx16 \dst \base \offset
.endm


/* ds operation macros */
.macro _ds_load_u8 dst src offset
    ds_read_u8 \dst \src \offset
.endm

.macro _ds_load_u8_d16_hi dst src offset
    ds_read_u8_d16_hi \dst \src \offset
.endm

.macro _ds_load_u16 dst src offset
    ds_read_u16 \dst \src \offset
.endm

.macro _ds_load_u16_d16_hi dst src offset
    ds_read_u16_d16_hi \dst \src \offset
.endm

.macro _ds_load_b32 dst src offset
    ds_read_b32 \dst \src \offset
.endm

.macro _ds_load_b64 dst src offset
    ds_read_b64 \dst \src \offset
.endm

.macro _ds_load_b128 dst src offset
    ds_read_b128 \dst \src \offset
.endm

.macro _ds_store_b8 dst src offset
    ds_write_b8 \dst \src \offset
.endm

.macro _ds_store_b8_d16_hi dst src offset
    ds_write_b8_d16_hi \dst \src \offset
.endm

.macro _ds_store_b16 dst src offset
    ds_write_b16 \dst \src \offset
.endm

.macro _ds_store_b16_d16_hi dst src offset
    ds_write_b16_d16_hi \dst \src \offset
.endm

.macro _ds_store_b32 dst src offset
    ds_write_b32 \dst \src \offset
.endm

.macro _ds_store_b64 dst src offset
    ds_write_b64 \dst \src \offset
.endm

.macro _ds_store_b128 dst src offset
    ds_write_b128 \dst \src \offset
.endm

.macro _ds_load2_b32 dst src offset1 offset2
    ds_read2_b32 \dst \src \offset1 \offset2
.endm

.macro _ds_load2_b64 dst src offset1 offset2
    ds_read2_b64 \dst \src \offset1 \offset2
.endm

.macro _ds_store2_b32 dst src offset1 offset2
    ds_write2_b32 \dst \src \offset1 \offset2
.endm

.macro _ds_store2_b64 dst src offset1 offset2
    ds_write2_b64 \dst \src \offset1 \offset2
.endm


/* buffer memory operation macros */
.macro _buffer_load_b32 dst voffset base soffset offen ioffset md0 md1 md2
    buffer_load_dword \dst \voffset \base \soffset \offen \ioffset \md0 \md1 \md2
.endm

.macro _buffer_load_b64 dst voffset base soffset offen ioffset md0 md1 md2
    buffer_load_dwordx2 \dst \voffset \base \soffset \offen \ioffset \md0 \md1 \md2
.endm

.macro _buffer_load_b96 dst voffset base soffset offen ioffset md0 md1 md2
    buffer_load_dwordx3 \dst \voffset \base \soffset \offen \ioffset \md0 \md1 \md2
.endm

.macro _buffer_load_b128 dst voffset base soffset offen ioffset md0 md1 md2
    buffer_load_dwordx4 \dst \voffset \base \soffset \offen \ioffset \md0 \md1 \md2
.endm

.macro _buffer_load_d16_b16 dst voffset base soffset offen ioffset md0 md1 md2
    buffer_load_short_d16 \dst \voffset \base \soffset \offen \ioffset \md0 \md1 \md2
.endm

.macro _buffer_load_d16_hi_b16 dst voffset base soffset offen ioffset md0 md1 md2
    buffer_load_short_d16_hi \dst \voffset \base \soffset \offen \ioffset \md0 \md1 \md2
.endm

.macro _buffer_load_d16_u8 dst voffset base soffset offen ioffset md0 md1 md2
    buffer_load_ubyte_d16 \dst \voffset \base \soffset \offen \ioffset \md0 \md1 \md2
.endm

.macro _buffer_load_d16_hi_u8 dst voffset base soffset offen ioffset md0 md1 md2
    buffer_load_ubyte_d16_hi \dst \voffset \base \soffset \offen \ioffset \md0 \md1 \md2
.endm

.macro _buffer_load_u16 dst voffset base soffset offen ioffset md0 md1 md2
    buffer_load_ushort \dst \voffset \base \soffset \offen \ioffset \md0 \md1 \md2
.endm

.macro _buffer_load_b32_dtl voffset base soffset offen ioffset md0 md1 md2
    buffer_load_dword \voffset \base \soffset \offen \ioffset \md0 \md1 \md2
.endm

.macro _buffer_load_b64_dtl voffset base soffset offen ioffset md0 md1 md2
    buffer_load_dwordx2 \voffset \base \soffset \offen \ioffset \md0 \md1 \md2
.endm

.macro _buffer_load_b128_dtl voffset base soffset offen ioffset md0 md1 md2
    buffer_load_dwordx4 \voffset \base \soffset \offen \ioffset \md0 \md1 \md2
.endm

.macro _buffer_load_u16_dtl voffset base soffset offen ioffset md0 md1 md2
    buffer_load_ushort \voffset \base \soffset \offen \ioffset \md0 \md1 \md2
.endm

.macro _buffer_store_b32 src voffset base soffset offen ioffset md0 md1 md2
    buffer_store_dword \src \voffset \base \soffset \offen \ioffset \md0 \md1 \md2
.endm

.macro _buffer_store_b64 src voffset base soffset offen ioffset md0 md1 md2
    buffer_store_dwordx2 \src \voffset \base \soffset \offen \ioffset \md0 \md1 \md2
.endm

.macro _buffer_store_b96 src voffset base soffset offen ioffset md0 md1 md2
    buffer_store_dwordx3 \src \voffset \base \soffset \offen \ioffset \md0 \md1 \md2
.endm

.macro _buffer_store_b128 src voffset base soffset offen ioffset md0 md1 md2
    buffer_store_dwordx4 \src \voffset \base \soffset \offen \ioffset \md0 \md1 \md2
.endm

.macro _buffer_store_b16 src voffset base soffset offen ioffset md0 md1 md2
    buffer_store_short \src \voffset \base \soffset \offen \ioffset \md0 \md1 \md2
.endm

.macro _buffer_store_d16_hi_b16 src voffset base soffset offen ioffset md0 md1 md2
    buffer_store_short_d16_hi \src \voffset \base \soffset \offen \ioffset \md0 \md1 \md2
.endm

.macro _buffer_store_b8 src voffset base soffset offen ioffset md0 md1 md2
    buffer_store_byte \src \voffset \base \soffset \offen \ioffset \md0 \md1 \md2
.endm

.macro _buffer_store_d16_hi_b8 src voffset base soffset offen ioffset md0 md1 md2
    buffer_store_byte_d16_hi \src \voffset \base \soffset \offen \ioffset \md0 \md1 \md2
.endm

.macro _buffer_atomic_cmpswap_b32 dst voffset base soffset offen ioffset md0 md1 md2
    buffer_atomic_cmpswap \dst \voffset \base \soffset \offen \ioffset \md0 \md1 \md2
.endm

.macro _buffer_atomic_cmpswap_b64 dst voffset base soffset offen ioffset md0 md1 md2
    buffer_atomic_cmpswap_x2 \dst \voffset \base \soffset \offen \ioffset \md0 \md1 \md2
.endm


/* buffer memory operation macros */
.macro _global_load_b32 dst base src ioffset md0 md1 md2
    global_load_dword \dst \base \src \ioffset \md0 \md1 \md2
.endm

.macro _global_load_b64 dst base src ioffset md0 md1 md2
    global_load_dwordx2 \dst \base \src \ioffset \md0 \md1 \md2
.endm

.macro _global_load_b96 dst base src ioffset md0 md1 md2
    global_load_dwordx3 \dst \base \src \ioffset \md0 \md1 \md2
.endm

.macro _global_load_b128 dst base src ioffset md0 md1 md2
    global_load_dwordx4 \dst \base \src \ioffset \md0 \md1 \md2
.endm

.macro _global_load_d16_b16 dst base src ioffset md0 md1 md2
    global_load_short_d16 \dst \base \src \ioffset \md0 \md1 \md2
.endm

.macro _global_load_d16_hi_b16 dst base src ioffset md0 md1 md2
    global_load_short_d16_hi \dst \base \src \ioffset \md0 \md1 \md2
.endm

.macro _global_load_d16_u8 dst base src ioffset md0 md1 md2
    global_load_ubyte_d16 \dst \base \src \ioffset \md0 \md1 \md2
.endm

.macro _global_load_d16_hi_u8 dst base src ioffset md0 md1 md2
    global_load_ubyte_d16_hi \dst \base \src \ioffset \md0 \md1 \md2
.endm

.macro _global_load_u16 dst base src ioffset md0 md1 md2
    global_load_ushort \dst \base \src \ioffset \md0 \md1 \md2
.endm

.macro _global_store_b32 base src src2 md0 md1 md2
    global_store_dword \base \src \src2 \md0 \md1 \md2
.endm

.macro _global_store_b64 base src src2 md0 md1 md2
    global_store_dwordx2 \base \src \src2 \md0 \md1 \md2
.endm

.macro _global_store_b96 base src src2 md0 md1 md2
    global_store_dwordx3 \base \src \src2 \md0 \md1 \md2
.endm

.macro _global_store_b128 base src src2 md0 md1 md2
    global_store_dwordx4 \base \src \src2 \md0 \md1 \md2
.endm

.macro _global_store_d16_b16 base src src2 md0 md1 md2
    global_store_short \base \src \src2 \md0 \md1 \md2
.endm

.macro _global_store_d16_hi_b16 base src src2 md0 md1 md2
    global_store_short_d16_hi \base \src \src2 \md0 \md1 \md2
.endm

.macro _global_store_d16_u8 base src src2 md0 md1 md2
    global_store_ubyte_d16 \base \src \src2 \md0 \md1 \md2
.endm

.macro _global_store_d16_hi_u8 base src src2 md0 md1 md2
    global_store_ubyte_d16_hi \base \src \src2 \md0 \md1 \md2
.endm

.macro _global_store_u16 base src src2 md0 md1 md2
    global_store_ushort \base \src \src2 \md0 \md1 \md2
.endm

.macro _global_atomic_cmpswap_b32 tmp base data src ioffset md
    global_atomic_cmpswap \tmp \base \data \src \ioffset \md
.endm

.macro _global_atomic_cmpswap_b64 tmp base data src ioffset md
    global_atomic_cmpswap_x2 \tmp \base \data \src \ioffset \md
.endm


/******************************************/
/* Magic div and mod functions            */
/******************************************/
.macro V_MAGIC_DIV dstIdx:req, dividend:req, magicNumber:req, magicShift:req, magicA:req
    v_mul_hi_u32 v[\dstIdx+1], \dividend, \magicNumber
    v_mul_lo_u32 v[\dstIdx+0], \dividend, \magicA
    _v_add_u32 v[\dstIdx+0], v[\dstIdx+0], v[\dstIdx+1]
    v_lshrrev_b32 v[\dstIdx+0], \magicShift, v[\dstIdx+0]
.endm

/******************************************/
/* VGPR Assignments                       */
/******************************************/
/* ValuC range: [0-128), serializedStore enabled */
.set vgprValuC, 0
/* ValuA/B   Xn=PLR buffer idx,  In=InnerUnroll idx */
.set vgprValuA_X0_I0, 128
.set vgprValuA_X1_I0, 132
.set vgprG2LA, 158
.set vgprValuB_X0_I0, 136
.set vgprValuB_X1_I0, 144
.set vgprG2LB, 166
.set vgprLocalWriteAddrA, 152
.set vgprLocalWriteAddrB, 153
.set vgprGlobalReadOffsetA, 154
.set vgprGlobalReadOffsetB, 156
.set vgprLocalReadAddrA, 170
.set vgprLocalReadAddrB, 171
.set vgprSerial, 172
/* Num VGPR=256 */
/* Num AccVGPR=0 */

/******************************************/
/* SGPR Assignments                       */
/******************************************/
.set sgprKernArgAddress, 0 // (2)
.set sgprWorkGroup0, 2 // (1)
.set sgprWorkGroup1, 3 // (1)
.set sgprWorkGroup2, 4 // (1)
.set sgprLoopCounterL, 5 // (1)
.set sgprOrigLoopCounter, 6 // (1)
.set sgprSrdA, 8 // (4)
.set sgprSrdB, 12 // (4)
.set sgprSrdD, 16 // (4)
.set sgprSrdC, 20 // (4)
.set sgprTensor2dSizeA, 24 // (2)
.set sgprTensor2dSizeB, 26 // (2)
.set sgprAddressD, 28 // (2)
.set sgprAddressC, 30 // (2)
.set sgprAddressA, 32 // (2)
.set sgprAddressB, 34 // (2)
.set sgprAlpha, 36 // (1)
.set sgprBeta, 37 // (1)
.set sgprStridesD, 38 // (2)
.set sgprStridesC, 40 // (2)
.set sgprStridesA, 42 // (2)
.set sgprStridesB, 44 // (2)
.set sgprSizesFree, 46 // (3)
.set sgprSizesSum, 49 // (1)
.set sgprNumWorkGroups0, 50 // (1)
.set sgprNumWorkGroups1, 51 // (1)
.set sgprNumFullBlocks, 52 // (1)
.set sgprWgmRemainder1, 53 // (1)
.set sgprMagicNumberWgmRemainder1, 54 // (1)
.set sgprShadowLimitA, 0 // (2)
.set sgprShadowLimitB, 28 // (2)
.set sgprGlobalReadIncsA, 7 // (1)
.set sgprGlobalReadIncsB, 30 // (1)
/* max SGPR=58 */

/* Size Assignments */
.set sgprSizeI, sgprSizesFree+0
.set sgprSizeJ, sgprSizesFree+1
.set sgprSizeK, sgprSizesFree+2
.set sgprSizeL, sgprSizesSum+0

/* Stride Assignments */
.set constStrideD0I, 1
.set sgprStrideD1J, sgprStridesD+0
.set sgprStrideDK, sgprStridesD+1
.set constStrideC0I, 1
.set sgprStrideC1J, sgprStridesC+0
.set sgprStrideCK, sgprStridesC+1
.set constStrideA0I, 1
.set sgprStrideAL, sgprStridesA+0
.set sgprStrideAK, sgprStridesA+1
.set constStrideB1J, 1
.set sgprStrideBL, sgprStridesB+0
.set sgprStrideBK, sgprStridesB+1

.set MT0, 256
.set MT1, 128
.set DepthU, 16
.set GSU, 1
.set BpeA, 2
.set BpeALog2, 1
.set BpeB, 2
.set BpeBLog2, 1
/* Number of elements to shift-left SRD */
.set SrdShiftLeftA, 8
.set SrdShiftLeftB, 8
/* 2GB limit - set offsets to -1 to exceed this and clamp */
.set BufferLimitA, 0xffffffff
.set BufferLimitB, 0xffffffff
.set BufferOOB, 0xfffff000

/******************************************/
/* Bits 127:96 of SRD.                    */
/* hex: 0x00020000                        */
/* dst_sel_x (3b): 0                      */
/* dst_sel_y (3b): 0                      */
/* dst_sel_z (3b): 0                      */
/* dst_sel_w (3b): 0                      */
/* num_format (3b): 0                     */
/* data_format (4b): 4                    */
/* user_vm_enable (1b): 0                 */
/* user_vm_mode (1b): 0                   */
/* index_stride (2b): 0                   */
/* add_tid_enable (1b): 0                 */
/* _unusedA (3b): 0                       */
/* nv (1b): 0                             */
/* _unusedB (2b): 0                       */
/* type (2b): 0                           */
/******************************************/
.set Srd127_96, 0x00020000

/* Global Offset A */
.macro GLOBAL_OFFSET_A vgprAddr:req vgprOffset0I:req vgprOffsetL:req vgprTmp:req
v_mul_lo_u32 v[\vgprTmp+0], s[sgprStrideAL], v[\vgprOffsetL] // mul d1 lower
_v_add_co_u32 v[\vgprAddr+0], vcc, v[\vgprOffset0I], v[\vgprTmp+0] // accumulate K lower
_v_add_u32 v[\vgprAddr+0], 0x8, v[\vgprAddr+0]     // add prepad for pointer shift
v_lshlrev_b32 v[\vgprAddr+0], 0x1, v[\vgprAddr+0]  // offset *= bytes/element
.endm

/* Global Offset B */
.macro GLOBAL_OFFSET_B vgprAddr:req vgprOffset1J:req vgprOffsetL:req vgprTmp:req
v_mul_lo_u32 v[\vgprTmp+0], s[sgprStrideBL], v[\vgprOffsetL] // mul d1 lower
_v_add_co_u32 v[\vgprAddr+0], vcc, v[\vgprOffset1J], v[\vgprTmp+0] // accumulate K lower
_v_add_u32 v[\vgprAddr+0], 0x8, v[\vgprAddr+0]     // add prepad for pointer shift
v_lshlrev_b32 v[\vgprAddr+0], 0x1, v[\vgprAddr+0]  // offset *= bytes/element
.endm

/******************************************/
/* Dynamic Scalar Divide: vQuotient=vDividend/vDivisor; vRemainder=vDividend%vDivisor; */
/******************************************/
.macro DYNAMIC_VECTOR_DIVIDE vQuotient vRemainder vDividend vDivisor vTmp0 vTmp1 sTmp
v_cvt_f32_u32 v[\vQuotient], v[\vDivisor]          // 
v_rcp_f32 v[\vQuotient], v[\vQuotient]             // 
v_mul_f32 v[\vQuotient], 0x4f800000, v[\vQuotient] // 
v_cvt_u32_f32 v[\vQuotient], v[\vQuotient]         // 
v_mul_lo_u32 v[\vRemainder], v[\vDivisor], v[\vQuotient] // 
v_mul_hi_u32 v[\vTmp0], v[\vDivisor], v[\vQuotient] // 
_v_sub_co_u32 v[\vTmp1], vcc, 0x0, v[\vRemainder]  // 
v_cmp_ne_i32 s[\sTmp:\sTmp+1], 0x0, v[\vTmp0]      // 
v_cndmask_b32 v[\vRemainder], v[\vTmp1], v[\vRemainder], s[\sTmp:\sTmp+1] // 
v_mul_hi_u32 v[\vRemainder], v[\vRemainder], v[\vQuotient] // 
_v_sub_co_u32 v[\vTmp0], vcc, v[\vQuotient], v[\vRemainder] // 
_v_add_co_u32 v[\vQuotient], vcc, v[\vQuotient], v[\vRemainder] // 
v_cndmask_b32 v[\vQuotient], v[\vQuotient], v[\vTmp0], s[\sTmp:\sTmp+1] // 
v_mul_hi_u32 v[\vQuotient], v[\vQuotient], v[\vDividend] // 
v_mul_lo_u32 v[\vRemainder], v[\vQuotient], v[\vDivisor] // 
_v_sub_co_u32 v[\vTmp0], vcc, v[\vDividend], v[\vRemainder] // 
v_cmp_ge_u32 s[\sTmp:\sTmp+1], v[\vDividend], v[\vRemainder] // 
_v_add_co_u32 v[\vRemainder], vcc, 0x1, v[\vQuotient] // 
_v_add_co_u32 v[\vTmp1], vcc, -1, v[\vQuotient]    // 
v_cmp_le_u32 vcc, v[\vDivisor], v[\vTmp0]          // 
s_and_b64 vcc, s[\sTmp:\sTmp+1], vcc               // 
v_cndmask_b32 v[\vQuotient], v[\vQuotient], v[\vRemainder], vcc // 
v_cndmask_b32 v[\vQuotient], v[\vTmp1], v[\vQuotient], s[\sTmp:\sTmp+1] // 
v_cmp_ne_i32 vcc, 0x0, v[\vDivisor]                // 
v_cndmask_b32 v[\vQuotient], -1, v[\vQuotient], vcc // final result
v_mul_lo_u32 v[\vRemainder], v[\vQuotient], v[\vDivisor] // 
_v_sub_co_u32 v[\vRemainder], vcc, v[\vDividend], v[\vRemainder] // final result
.endm


	;; [unrolled: 1-line block ×3, first 2 shown]
/******************************************/
/* Allocate Resources                     */
/******************************************/

Cijk_Ailk_Bjlk_HSS_BH_MT256x128x16_MI32x32x8x1_SN_1LDSB0_APM1_ABV0_ACED0_AF0EM1_AF1EM1_AMAS0_ASE_ASGT_ASLT_ASEM1_AAC0_BL1_BS1_CLR0_DTVA0_DVO0_ETSP_EPS1_EMLL0_FL0_GLVWA8_GLVWB8_GRPM1_GRVW8_GSU1_GSUASB_GLS0_ISA90a_IU1_K1_KLA_LBSPPA0_LBSPPB0_LPA0_LPB0_LDL1_LRVW4_LWPMn1_LDW0_FMA_MIAV1_MO40_MMFGLC_NTA0_NTB0_NTC3_NTD3_NEPBS0_NLCA1_NLCB1_ONLL1_OPLV0_PK0_PAP0_PGR2_PLR1_SIA3_SS1_SU0_SUM0_SUS0_SCIUI1_SPO1_SRVW0_SSO2_SVW1_SNLL0_TSGRA0_TSGRB0_TT2_128_TLDS0_UMLDSA0_UMLDSB0_USFGROn1_VAW1_VSn1_VW1_VWB1_VFLRP0_WSGRA0_WSGRB0_WG128_2_1_WGM8_preloaded: // Kernel start when preloading
s_setprio 3                                        // optimization store

/* Load Kernel Args */
_s_load_b512 s[24:39], s[sgprKernArgAddress:sgprKernArgAddress+1], 0x0 // 
_s_load_b256 s[40:47], s[sgprKernArgAddress:sgprKernArgAddress+1], 0x40 // 
_s_load_b128 s[48:51], s[sgprKernArgAddress:sgprKernArgAddress+1], 0x60 // 
_s_load_b64 s[52:53], s[sgprKernArgAddress:sgprKernArgAddress+1], 0x70 // 
_s_load_b32 s54, s[sgprKernArgAddress:sgprKernArgAddress+1], 0x78 // 
s_mov_b32 m0, 0x7000                               // LDS clamp at 28672 bytes
v_mov_b32 v[vgprSerial], v0                        // thread serial id

/******************************************/
/* Local Read Addresses                   */
/******************************************/


/* local read addresses: tile assignments a/b */

/*lr0I*/
v_and_b32 v1, 63, v[vgprSerial]                    // 0. thread id in wave: wtid = tid % wavelength(64)
v_and_b32 v0, 31, v1                               // 1. N offset: nIdx = wtid % MI_N(32)
                                                   // 1. N offset: nOffset = nIdx * nStride(1) (multiplier is 1, do nothing)
                                                   // 2. block offset: bnIdx = bnIdx % num1DBlocks(1) is 0. do nothing
                                                   // 4. apply VectorWidth: bnOffset = bnOffset * vw(1) (multiplier is 1, do nothing)
v_lshrrev_b32 v1, 5, v1                            // 5. K offset: kIdx = wtid / (MIN(32) * MIBB(1))
v_lshlrev_b32 v1, 0xa, v1                          // 5. K offset: lrKOffset = kIdx * mStride(1024)
_v_add_u32 v0, v1, v0                              // 6. offset in wave: lrOffset = bnOffset + lrKOffset
v_lshrrev_b32 v2, 6, v[vgprSerial]                 // 7. wave offset in N dimen: wtid = tid / dividedForWaveId(64)
v_and_b32 v1, 3, v2                                // 7. wave offset in M dimen: wtid0 = wtid / num1DWaves(4)
v_lshlrev_b32 v1, 0x5, v1                          // 7. wave offset in M dimen: wOffset = wtid0 * W0Stride(32)
_v_add_u32 v0, v1, v0                              // 8. final local read offset: flrOffset = lrOffset + WOffset
/*lr1J*/
v_and_b32 v2, 63, v[vgprSerial]                    // 0. thread id in wave: wtid = tid % wavelength(64)
v_and_b32 v1, 31, v2                               // 1. N offset: nIdx = wtid % MI_N(32)
                                                   // 1. N offset: nOffset = nIdx * nStride(1) (multiplier is 1, do nothing)
                                                   // 2. block offset: bnIdx = bnIdx % num1DBlocks(1) is 0. do nothing
                                                   // 4. apply VectorWidth: bnOffset = bnOffset * vw(1) (multiplier is 1, do nothing)
v_lshrrev_b32 v2, 5, v2                            // 5. K offset: kIdx = wtid / (MIN(32) * MIBB(1))
v_lshlrev_b32 v2, 0x9, v2                          // 5. K offset: lrKOffset = kIdx * mStride(512)
_v_add_u32 v1, v2, v1                              // 6. offset in wave: lrOffset = bnOffset + lrKOffset


/* local read addresses: final offsets a */

v_lshlrev_b32 v[vgprLocalReadAddrA], 0x1, v0       // Final Offset: offset = (lro0)*bpe


/* local read addresses: final offsets b */

v_lshlrev_b32 v[vgprLocalReadAddrB], 0x1, v1       // Final Offset: offset = (lro1)*bpe


/* local read addresses: declare addresses a */

/* N/A */


/* local read addresses: declare addresses b */

_v_add_co_u32 v[vgprLocalReadAddrB+0], vcc, 0x2000, v[vgprLocalReadAddrB+0] //  += LdsOffsetB (lower)


/* global read addresses: tile offset assignment a */

/* LVCA = 32 */
/* v0 = (local)groA-tile = serial%LVCA (note (wgA*MTA) will be added to SRD) */
/* v1 = groA-unroll = serial/LVCA */
v_lshrrev_b32 v1, 5, v[vgprSerial]                 // v1 = v[vgprSerial] / 32
v_and_b32 v0, 31, v[vgprSerial]                    // v0 = v[vgprSerial] % 32
/* gro-tile *= glvw */
v_lshlrev_b32 v0, 0x3, v0                          // v0 = v0 * 8


/* global read addresses: tile offset assignment b */

/* LVCB = 16 */
/* v2 = (local)groB-tile = serial%LVCB (note (wgB*MTB) will be added to SRD) */
/* v3 = groB-unroll = serial/LVCB */
v_lshrrev_b32 v3, 4, v[vgprSerial]                 // v3 = v[vgprSerial] / 16
v_and_b32 v2, 15, v[vgprSerial]                    // v2 = v[vgprSerial] % 16
/* gro-tile *= glvw */
v_lshlrev_b32 v2, 0x3, v2                          // v2 = v2 * 8


/******************************************/
/* Local Write Addresses                  */
/******************************************/

/* lwaTileAssignmentA = v0 */

/* lwaTileAssignmentB = v2 */

/* lwaUnrollAssignmentA = v1 */

/* lwaUnrollAssignmentB = v3 */


/* local write addresses: first offset a */

v_mul_u32_u24 v[vgprLocalWriteAddrA], 0x100, v1    // lwAL**(MTA + PAD)
_v_add_lshl_u32 v[vgprLocalWriteAddrA], v0, v[vgprLocalWriteAddrA], 0x1 // lwFOA = (lwAA + lwAL*(MT0I+PAD))*bpe


/* local write addresses: first offset b */

v_mul_u32_u24 v[vgprLocalWriteAddrB], 0x80, v3     // lwBL**(MTB + PAD)
_v_add_lshl_u32 v[vgprLocalWriteAddrB], v2, v[vgprLocalWriteAddrB], 0x1 // lwFOB = (lwBB + lwBL*(MT1J+PAD))*bpe
_v_add_co_u32 v[vgprLocalWriteAddrB], vcc, 0x2000, v[vgprLocalWriteAddrB] // lwFOB = lwB1J + lwBL*MT1J + LDS_OFFSET_B=4096*2


	;; [unrolled: 1-line block ×7, first 2 shown]
s_waitcnt lgkmcnt(0)                               // wait for 124 bytes of kern args
s_mov_b64 s[sgprSrdC+0:sgprSrdC+0+1], s[sgprAddressC+0:sgprAddressC+0+1] // copy addressC
s_mov_b64 s[sgprSrdD+0:sgprSrdD+0+1], s[sgprAddressD+0:sgprAddressD+0+1] // copy addressD
s_sub_u32 s[sgprSrdA+0], s[sgprAddressA+0], 16     // pre-pad to make room for possible pointer shift
s_subb_u32 s[sgprSrdA+1], s[sgprAddressA+1], 0     // pre-pad to make room for possible pointer shift
s_sub_u32 s[sgprSrdB+0], s[sgprAddressB+0], 16     // pre-pad to make room for possible pointer shift
s_subb_u32 s[sgprSrdB+1], s[sgprAddressB+1], 0     // pre-pad to make room for possible pointer shift

.set AddressD, UNDEF
.set AddressC, UNDEF
.set AddressA, UNDEF
.set AddressB, UNDEF

/* Short circuit condition if Alpha == 0, then sumDims=0 */
v_cmp_eq_f32 vcc, s[sgprAlpha], 0.0                // Alpha == 0.0f ?
s_cbranch_vccz label_AlphaNonZero                  // branch if alpha != 0
s_mov_b32 s[sgprSizesSum+0], 0x0                   // Set summation dim=0 if Alpha == 0
label_AlphaNonZero:


	;; [unrolled: 1-line block ×3, first 2 shown]
/******************************************/
/* Begin setupNewTile, isPap=False           */
/******************************************/


/* global read addresses: work-group */

/* graWorkGroup mapping */
s_mov_b32 s35, 0x10000001L                         // magic number for WGM==8
s_mul_hi_u32 s33, s[sgprWorkGroup1], s35           // s_magic mul
s_mul_i32 s32, s[sgprWorkGroup1], s35              // s_magic mul
s_lshr_b64 s[32:33], s[32:33], 31                  // sMagicDiv
s_mul_i32 s33, s32, 8                              // quotient * non-magic divisor
s_sub_u32 s33, s[sgprWorkGroup1], s33              // WorkGroup1=remainder
s_mul_i32 s33, s33, s[sgprNumWorkGroups0]          // (wg1 % WGM)*nwg0
s_add_u32 s33, s33, s[sgprWorkGroup0]              // wgSerial = wg0 + (wg1 % WGM)*nwg1
s_cmp_ge_u32 s32, s[sgprNumFullBlocks]             // blockId >= numFullBlocks ?
s_cmov_b32 s35, s[sgprMagicNumberWgmRemainder1]    // 
s_cselect_b32 s34, s[sgprWgmRemainder1], 8         // 
s_mul_hi_u32 s3, s33, s35                          // s_magic mul
s_mul_i32 s2, s33, s35                             // s_magic mul
s_lshr_b64 s[2:3], s[2:3], 31                      // sMagicDiv
s_mul_i32 s[sgprWorkGroup1], s[sgprWorkGroup0], s34 // quotient * non-magic divisor
s_sub_u32 s[sgprWorkGroup1], s33, s[sgprWorkGroup1] // WorkGroup1=remainder
s_mul_i32 s32, s32, 8                              // blockId * WGM
s_add_u32 s[sgprWorkGroup1], s[sgprWorkGroup1], s32 // wg1 += blockId * WGM


/* global read addresses: unroll assignment a */

/* v1 */


/* global read addresses: unroll assignment b */

/* v3 */


/* global read addresses: other free assignments */

/* s[sgprWorkGroup2] */


/* global read addresses: tile offsets a */

v_mov_b32 v4, v0                                   // groA0I_0


/* global read addresses: tile offsets b */

v_mov_b32 v5, v2                                   // groB1J_0


/* global read addresses: unroll offsets a */

v_mov_b32 v6, v1                                   // groAL_0
_v_add_co_u32 v7, vcc, 8, v6                       // groAL_1 + LSPA


/* global read addresses: unroll offsets b */

v_mov_b32 v8, v3                                   // groBL_0


/* global read addresses: shift a */

s_mul_i32 s31, s[sgprWorkGroup0], 256              // WorkGroup[01] * MT
s_sub_u32 s31, s[sgprSizeI], s31                   // edge = Size0I - WG*MT
s_sub_u32 s31, s31, 8                              // edge -= margin(8)
v_mov_b32 v9, s31                                  // edge vgpr = Size0I- WG*MT - margin(8)
v_min_i32 v4, v9, v4                               // offset = (offset < edge) ? offset(v4) : edge(v9)


/* global read addresses: shift b */

s_mul_i32 s31, s[sgprWorkGroup1], 128              // WorkGroup[01] * MT
s_sub_u32 s31, s[sgprSizeJ], s31                   // edge = Size1J - WG*MT
s_sub_u32 s31, s31, 8                              // edge -= margin(8)
v_mov_b32 v9, s31                                  // edge vgpr = Size1J- WG*MT - margin(8)
v_min_i32 v5, v9, v5                               // offset = (offset < edge) ? offset(v5) : edge(v9)


/* global read addresses: final offsets a */

GLOBAL_OFFSET_A vgprGlobalReadOffsetA+0,  4,  6, 9 // gROA_0_0_0_0
GLOBAL_OFFSET_A vgprGlobalReadOffsetA+1,  4,  7, 9 // gROA_0_0_1_0


/* global read addresses: final offsets b */

GLOBAL_OFFSET_B vgprGlobalReadOffsetB+0,  5,  8, 9 // gROB_0_0_0_0


/* global read addresses: addresses a */

/* max read offset = size[n] * stride[n-1] */
s_mul_hi_u32 s35, s[sgprWorkGroup0], 256           // WorkGroup[01] * MT
s_mul_i32 s34, s[sgprWorkGroup0], 256              // WorkGroup[01] * MT
s_sub_u32 s[sgprShadowLimitA+0], s[sgprTensor2dSizeA], s34 // sub tileStart
s_subb_u32 s[sgprShadowLimitA+1], s[sgprTensor2dSizeA+1], s35 // sub tileStart
s_lshl_b64 s[sgprShadowLimitA:sgprShadowLimitA+1], s[sgprShadowLimitA:sgprShadowLimitA+1], 0x1 // Set limit to use bytes
s_add_u32 s[sgprShadowLimitA+0], s[sgprShadowLimitA+0], 16 // extend limit for pre-pad
s_addc_u32 s[sgprShadowLimitA+1], s[sgprShadowLimitA+1], 0 // extend limit for pre-pad
s_cmp_eq_u32 s[sgprShadowLimitA+1], 0              // are we within 2^32?
s_cselect_b32 s[sgprSrdA+2], s[sgprShadowLimitA+0], BufferLimitA // Move shadow to real if we are within 2^32
s_mul_hi_u32 s33, s[sgprStrideAK], s[sgprWorkGroup2] // Stride*WG
s_mul_i32 s32, s[sgprStrideAK], s[sgprWorkGroup2]  // Stride*WG
s_add_u32 s34, s34, s32                            // accum wg term to tilestart
s_addc_u32 s35, s35, s33                           // accum wg term to tilestart
s_lshl_b64 s[34:35], s[34:35], 0x1                 // tileStart *= BPE
s_add_u32 s[sgprSrdA+0], s[sgprSrdA+0], s34        // SRD base = Address+ tileStart0
s_addc_u32 s[sgprSrdA+1], s[sgprSrdA+1], s35       // SRD base = Address+ tileStart1
s_mov_b32 s[sgprSrdA+3], Srd127_96                 // Set bits 127_96 in SRD


/* global read addresses: addresses b */

/* max read offset = size[n] * stride[n-1] */
s_mul_hi_u32 s35, s[sgprWorkGroup1], 128           // WorkGroup[01] * MT
s_mul_i32 s34, s[sgprWorkGroup1], 128              // WorkGroup[01] * MT
s_sub_u32 s[sgprShadowLimitB+0], s[sgprTensor2dSizeB], s34 // sub tileStart
s_subb_u32 s[sgprShadowLimitB+1], s[sgprTensor2dSizeB+1], s35 // sub tileStart
s_lshl_b64 s[sgprShadowLimitB:sgprShadowLimitB+1], s[sgprShadowLimitB:sgprShadowLimitB+1], 0x1 // Set limit to use bytes
s_add_u32 s[sgprShadowLimitB+0], s[sgprShadowLimitB+0], 16 // extend limit for pre-pad
s_addc_u32 s[sgprShadowLimitB+1], s[sgprShadowLimitB+1], 0 // extend limit for pre-pad
s_cmp_eq_u32 s[sgprShadowLimitB+1], 0              // are we within 2^32?
s_cselect_b32 s[sgprSrdB+2], s[sgprShadowLimitB+0], BufferLimitB // Move shadow to real if we are within 2^32
s_mul_hi_u32 s33, s[sgprStrideBK], s[sgprWorkGroup2] // Stride*WG
s_mul_i32 s32, s[sgprStrideBK], s[sgprWorkGroup2]  // Stride*WG
s_add_u32 s34, s34, s32                            // accum wg term to tilestart
s_addc_u32 s35, s35, s33                           // accum wg term to tilestart
s_lshl_b64 s[34:35], s[34:35], 0x1                 // tileStart *= BPE
s_add_u32 s[sgprSrdB+0], s[sgprSrdB+0], s34        // SRD base = Address+ tileStart0
s_addc_u32 s[sgprSrdB+1], s[sgprSrdB+1], s35       // SRD base = Address+ tileStart1
s_mov_b32 s[sgprSrdB+3], Srd127_96                 // Set bits 127_96 in SRD


/* global read addresses: increments a */

s_mul_i32 s[sgprGlobalReadIncsA+0], DepthU*BpeA, s[sgprStrideAL] // incrA unrollIdx)


/* global read addresses: increments b */

s_mul_i32 s[sgprGlobalReadIncsB+0], DepthU*BpeB, s[sgprStrideBL] // incrB unrollIdx)

/* declare loop num iterations */


s_lshr_b32 s[sgprLoopCounterL], s[sgprSizesSum+0], 4 // s[sgprLoopCounterL] = s[sgprSizesSum+0] / 16
s_mov_b32 s[sgprOrigLoopCounter], s[sgprLoopCounterL] // copy loop counter

/* local read addresses: init pointers a */


/* localReadInitPointers */

/* local read addresses: init pointers b */


/* localReadInitPointers */


/* prefetch: global -> local */

s_cmp_eq_u32 s[sgprLoopCounterL], 0                // at last iteration?
s_setprio 0                                        // optimization store
s_cbranch_scc1 ShadowInitStart_10                  // skip to ShadowInitStart iter b/c numIter==0


_buffer_load_b128 v[vgprG2LA+0:vgprG2LA+0+3], v[vgprGlobalReadOffsetA+0], s[sgprSrdA:sgprSrdA+3], 0, offen offset:0 // G -> Reg 0_0_0_0
_buffer_load_b128 v[vgprG2LA+4:vgprG2LA+4+3], v[vgprGlobalReadOffsetA+1], s[sgprSrdA:sgprSrdA+3], 0, offen offset:0 // G -> Reg 0_0_1_0


_buffer_load_b128 v[vgprG2LB+0:vgprG2LB+0+3], v[vgprGlobalReadOffsetB+0], s[sgprSrdB:sgprSrdB+3], 0, offen offset:0 // G -> Reg 0_0_0_0


/* global read inc A loopL */
s_add_u32 s[sgprSrdA+0], s[sgprSrdA+0], s[sgprGlobalReadIncsA+0] // gra SRD += inc(lower)
s_addc_u32  s[sgprSrdA+1], s[sgprSrdA+1], 0        // gra SRD += inc(upper)
s_sub_u32 s[sgprShadowLimitA+0], s[sgprShadowLimitA+0], s[sgprGlobalReadIncsA+0] // limit -= inc)
s_subb_u32 s[sgprShadowLimitA+1], s[sgprShadowLimitA+1], 0 // limit -= inc)
s_cmp_eq_u32 s[sgprShadowLimitA+1], 0              // are we within 2^32?
s_cmov_b32 s[sgprSrdA+2], s[sgprShadowLimitA+0]    // Move shadow to real if we are within 2^32

/* global read inc B loopL */
s_add_u32 s[sgprSrdB+0], s[sgprSrdB+0], s[sgprGlobalReadIncsB+0] // gra SRD += inc(lower)
s_addc_u32  s[sgprSrdB+1], s[sgprSrdB+1], 0        // gra SRD += inc(upper)
s_sub_u32 s[sgprShadowLimitB+0], s[sgprShadowLimitB+0], s[sgprGlobalReadIncsB+0] // limit -= inc)
s_subb_u32 s[sgprShadowLimitB+1], s[sgprShadowLimitB+1], 0 // limit -= inc)
s_cmp_eq_u32 s[sgprShadowLimitB+1], 0              // are we within 2^32?
s_cmov_b32 s[sgprSrdB+2], s[sgprShadowLimitB+0]    // Move shadow to real if we are within 2^32


/******************************************/
/* End setupNewTile, isPap=False             */
/******************************************/

ShadowInitStart_10: // 

s_mov_b32 s[sgprSrdD+2], BufferOOB                 // 
s_mov_b32 s[sgprSrdD+3], Srd127_96                 // Set bits 127_96 in post-loop SRD

s_mov_b32 s[sgprSrdC+2], BufferOOB                 // 
s_mov_b32 s[sgprSrdC+3], Srd127_96                 // Set bits 127_96 in post-loop SRD


s_mul_i32 s34, MT1, s[sgprWorkGroup1]              // <- wg1*MT1
s_mul_hi_u32 s33, s34, s[sgprStrideC1J]            // CScale s34 by Stride
s_mul_i32 s32, s34, s[sgprStrideC1J]               // CScale s34 by Stride
s_lshl_b64 s[32:33], s[32:33], 2                   // scale by bpe
s_add_u32 s[sgprSrdC+0], s[sgprSrdC+0], s32        // add lo to SRD
s_addc_u32 s[sgprSrdC+1], s[sgprSrdC+1], s33       // add hi to SRD
s_mul_hi_u32 s33, s34, s[sgprStrideD1J]            // Scale s34 by Stride
s_mul_i32 s32, s34, s[sgprStrideD1J]               // Scale s34 by Stride
s_lshl_b64 s[32:33], s[32:33], 2                   // scale by bpe
s_add_u32 s[sgprSrdD+0], s[sgprSrdD+0], s32        // add lo to SRD
s_addc_u32 s[sgprSrdD+1], s[sgprSrdD+1], s33       // add hi to SRD

s_mul_hi_u32 s33, s[sgprWorkGroup2], s[sgprStrideCK] // CScale s[sgprWorkGroup2] by Stride
s_mul_i32 s32, s[sgprWorkGroup2], s[sgprStrideCK]  // CScale s[sgprWorkGroup2] by Stride
s_lshl_b64 s[32:33], s[32:33], 2                   // scale by bpe
s_add_u32 s[sgprSrdC+0], s[sgprSrdC+0], s32        // add lo to SRD
s_addc_u32 s[sgprSrdC+1], s[sgprSrdC+1], s33       // add hi to SRD
s_mul_hi_u32 s33, s[sgprWorkGroup2], s[sgprStrideDK] // Scale s[sgprWorkGroup2] by Stride
s_mul_i32 s32, s[sgprWorkGroup2], s[sgprStrideDK]  // Scale s[sgprWorkGroup2] by Stride
s_lshl_b64 s[32:33], s[32:33], 2                   // scale by bpe
s_add_u32 s[sgprSrdD+0], s[sgprSrdD+0], s32        // add lo to SRD
s_addc_u32 s[sgprSrdD+1], s[sgprSrdD+1], s33       // add hi to SRD


	;; [unrolled: 1-line block ×3, first 2 shown]
/* initC: remove C-tile 0-128 from pool */

/* initC: remove AB-tile 128-152 from pool */
v_mov_b32 v[vgprValuC+0], 0x0                      // initC
v_mov_b32 v[vgprValuC+1], 0x0                      // initC
	;; [unrolled: 1-line block ×10, first 2 shown]
v_mov_b32 v[vgprValuC+10], 0x0                     // initC
v_mov_b32 v[vgprValuC+11], 0x0                     // initC
	;; [unrolled: 1-line block ×90, first 2 shown]
v_mov_b32 v[vgprValuC+100], 0x0                    // initC
v_mov_b32 v[vgprValuC+101], 0x0                    // initC
	;; [unrolled: 1-line block ×28, first 2 shown]

s_cmp_eq_u32 s[sgprLoopCounterL], 0                // at last iteration?

/* after InitC, skip to end of prefetch last iter if numIter==0 */
s_cbranch_scc0 label_NoBranch_11                   // Only branch on scc1
s_getpc_B64 s[32:33]                               // addr of next instr
s_add_i32 s34, PrefetchGlobalLastIterEnd_5, 0x4    // target branch offset
s_add_u32 s32, s32, s34                            // add target branch offset
s_addc_u32 s33, s33, 0                             // add high and carry
s_setpc_b64 s[32:33]                               // branch to PrefetchGlobalLastIterEnd_5
label_NoBranch_11:

s_waitcnt vmcnt(0)                                 // lgkmcnt=-1 vmcnt=0 8wait for global read


/* local write a */
_ds_store_b128 v[vgprLocalWriteAddrA], v[vgprG2LA+0:vgprG2LA+0+3] offset:0 // lwoA_0_0_0_0 = (0*LSCA) + (0*LSPA)(*MT0I+PAD) = 0
_ds_store_b128 v[vgprLocalWriteAddrA], v[vgprG2LA+4:vgprG2LA+4+3] offset:4096 // lwoA_0_0_1_0 = (0*LSCA) + (1*LSPA)(*MT0I+PAD) = 4096

/* local write b */
_ds_store_b128 v[vgprLocalWriteAddrB], v[vgprG2LB+0:vgprG2LB+0+3] offset:0 // lwoB_0_0_0_0 = (0*LSCB) + (0*LSPB)(*MT1J+PAD) = 0


/* local write swap a */


/* (EPS=1) local write swap internal offset -> 16384 */


/* local write swap b */


/* (EPS=1) local write swap internal offset -> 16384 */


	;; [unrolled: 1-line block ×3, first 2 shown]
s_cmp_eq_u32 s[sgprLoopCounterL] 0x1               // PGR=2 but only 1 loop
s_cbranch_scc1 label_0012                          // PGR=2 but only 1 loop


_buffer_load_b128 v[vgprG2LA+0:vgprG2LA+0+3], v[vgprGlobalReadOffsetA+0], s[sgprSrdA:sgprSrdA+3], 0, offen offset:0 // G -> Reg 0_0_0_0
_buffer_load_b128 v[vgprG2LA+4:vgprG2LA+4+3], v[vgprGlobalReadOffsetA+1], s[sgprSrdA:sgprSrdA+3], 0, offen offset:0 // G -> Reg 0_0_1_0


_buffer_load_b128 v[vgprG2LB+0:vgprG2LB+0+3], v[vgprGlobalReadOffsetB+0], s[sgprSrdB:sgprSrdB+3], 0, offen offset:0 // G -> Reg 0_0_0_0

label_0012:                                        // 

s_waitcnt lgkmcnt(0)                               // lgkmcnt=0 vmcnt=-10prefetch wait for local write

// Skip force waitcnt0
s_barrier //


/* local read prefetch a */

_ds_load_u16 v[vgprValuA_X0_I0+0], v[vgprLocalReadAddrA] offset:0 // L -> Reg lro=0 swapByteOffset=0 ti=128 vIdx=0 rIdx=0 oIdx=0 buffer=0 iui=0
_ds_load_u16_d16_hi v173, v[vgprLocalReadAddrA] offset:512 // L -> Reg lro=0 swapByteOffset=0 ti=128 vIdx=0 rIdx=1 oIdx=0 buffer=0 iui=0
_ds_load_u16 v[vgprValuA_X0_I0+1], v[vgprLocalReadAddrA] offset:1024 // L -> Reg lro=0 swapByteOffset=0 ti=128 vIdx=0 rIdx=2 oIdx=0 buffer=0 iui=0
_ds_load_u16_d16_hi v174, v[vgprLocalReadAddrA] offset:1536 // L -> Reg lro=0 swapByteOffset=0 ti=128 vIdx=0 rIdx=3 oIdx=0 buffer=0 iui=0
	;; [unrolled: 2-line block ×4, first 2 shown]


/* local read prefetch b */

_ds_load_u16 v[vgprValuB_X0_I0+0], v[vgprLocalReadAddrB] offset:0 // L -> Reg lro=0 swapByteOffset=0 ti=32 vIdx=0 rIdx=0 oIdx=0 buffer=0 iui=0
_ds_load_u16_d16_hi v177, v[vgprLocalReadAddrB] offset:256 // L -> Reg lro=0 swapByteOffset=0 ti=32 vIdx=0 rIdx=1 oIdx=0 buffer=0 iui=0
_ds_load_u16 v[vgprValuB_X0_I0+1], v[vgprLocalReadAddrB] offset:512 // L -> Reg lro=0 swapByteOffset=0 ti=32 vIdx=0 rIdx=2 oIdx=0 buffer=0 iui=0
_ds_load_u16_d16_hi v178, v[vgprLocalReadAddrB] offset:768 // L -> Reg lro=0 swapByteOffset=0 ti=32 vIdx=0 rIdx=3 oIdx=0 buffer=0 iui=0
	;; [unrolled: 2-line block ×8, first 2 shown]


/* local read inc a */

/* N/A, lro->2048 */
/* self.localReadDoCntA 1 self.localReadDoCntB 1 */


/* local read inc b */

/* N/A, lro->1024 */
/* self.localReadDoCntA 1 self.localReadDoCntB 1 */


	;; [unrolled: 1-line block ×3, first 2 shown]
/******************************************/
/* Unrolled Loop(s) - Begin               */
/******************************************/

openLoopL_13:
s_cmp_eq_u32 s[sgprLoopCounterL], 0x1              // LoopCounterL < EndCounter
s_cbranch_scc1 label_0014                          // PGR=2 but only 1 loop, toPGR1
s_cmp_le_u32 s[sgprLoopCounterL], 0x2              // LoopCounterL < EndCounter
s_cbranch_scc1 LoopEndL_evenexit_4                 // do not enter LoopL
LoopBeginL_1:


/******************************************/
/* Unrolled Loop 1/2 - Begin              */
/******************************************/

label_0015: // LoopCopy1 


/* Begin Each Unroll: Check VGPR.checkin for INT8 LW */


	;; [unrolled: 1-line block ×3, first 2 shown]
/* iter 0 (reset local read pointers iteration)  (swap local read pointers iteration)  */

/*  grEndMfmaIndex:2, lwStartMfmaIndex:4, lwEndMfmaIndex:10  */
/*  numMfmaForLR:4, barrierMfmaIndex:11, LocalWritePerMfma:0.370 */
/*  mfmaIndex:0  */
s_waitcnt lgkmcnt(0)                               // lgkmcnt=0 vmcnt=-1wait for prior local read local write old=0, new=0 newLW=0 newLR=0
/* pack scheduling: packAIdx:2, packBIdx:2 */
v_or_b32 v[vgprValuA_X0_I0+0], v[vgprValuA_X0_I0+0], v173 // pack two half Vgpr to one Vgpr
v_or_b32 v[vgprValuA_X0_I0+1], v[vgprValuA_X0_I0+1], v174 // pack two half Vgpr to one Vgpr
v_or_b32 v[vgprValuB_X0_I0+0], v[vgprValuB_X0_I0+0], v177 // pack two half Vgpr to one Vgpr
v_or_b32 v[vgprValuB_X0_I0+1], v[vgprValuB_X0_I0+1], v178 // pack two half Vgpr to one Vgpr
v_or_b32 v[vgprValuA_X0_I0+2], v[vgprValuA_X0_I0+2], v175 // pack two half Vgpr to one Vgpr
v_or_b32 v[vgprValuA_X0_I0+3], v[vgprValuA_X0_I0+3], v176 // pack two half Vgpr to one Vgpr
v_mfma_f32_32x32x8f16 v[0+0:15+0], v[vgprValuB_X0_I0+0+0+0:vgprValuB_X0_I0+0+0+0+1], v[vgprValuA_X0_I0+0+0+0:vgprValuA_X0_I0+0+0+0+1], v[0:15]
/*  mfmaIndex:1  */
_ds_load_u16 v[vgprValuA_X1_I0+0], v[vgprLocalReadAddrA] offset:4096 // L -> Reg lro=2048 swapByteOffset=0 ti=128 vIdx=0 rIdx=0 oIdx=0 buffer=1 iui=0
_ds_load_u16_d16_hi v185, v[vgprLocalReadAddrA] offset:4608 // L -> Reg lro=2048 swapByteOffset=0 ti=128 vIdx=0 rIdx=1 oIdx=0 buffer=1 iui=0
_ds_load_u16 v[vgprValuA_X1_I0+1], v[vgprLocalReadAddrA] offset:5120 // L -> Reg lro=2048 swapByteOffset=0 ti=128 vIdx=0 rIdx=2 oIdx=0 buffer=1 iui=0
_ds_load_u16_d16_hi v186, v[vgprLocalReadAddrA] offset:5632 // L -> Reg lro=2048 swapByteOffset=0 ti=128 vIdx=0 rIdx=3 oIdx=0 buffer=1 iui=0
_ds_load_u16 v[vgprValuB_X1_I0+0], v[vgprLocalReadAddrB] offset:2048 // L -> Reg lro=1024 swapByteOffset=0 ti=32 vIdx=0 rIdx=0 oIdx=0 buffer=1 iui=0
_ds_load_u16_d16_hi v189, v[vgprLocalReadAddrB] offset:2304 // L -> Reg lro=1024 swapByteOffset=0 ti=32 vIdx=0 rIdx=1 oIdx=0 buffer=1 iui=0

/* global read inc A loopL */
s_add_u32 s[sgprSrdA+0], s[sgprSrdA+0], s[sgprGlobalReadIncsA+0] // gra SRD += inc(lower)
s_addc_u32  s[sgprSrdA+1], s[sgprSrdA+1], 0        // gra SRD += inc(upper)
s_sub_u32 s[sgprShadowLimitA+0], s[sgprShadowLimitA+0], s[sgprGlobalReadIncsA+0] // limit -= inc)
s_subb_u32 s[sgprShadowLimitA+1], s[sgprShadowLimitA+1], 0 // limit -= inc)
s_cmp_eq_u32 s[sgprShadowLimitA+1], 0              // are we within 2^32?
s_cmov_b32 s[sgprSrdA+2], s[sgprShadowLimitA+0]    // Move shadow to real if we are within 2^32

/* global read inc B loopL */
s_add_u32 s[sgprSrdB+0], s[sgprSrdB+0], s[sgprGlobalReadIncsB+0] // gra SRD += inc(lower)
/* pack scheduling: packAIdx:4, packBIdx:2 */
v_or_b32 v[vgprValuB_X0_I0+2], v[vgprValuB_X0_I0+2], v179 // pack two half Vgpr to one Vgpr
v_or_b32 v[vgprValuB_X0_I0+3], v[vgprValuB_X0_I0+3], v180 // pack two half Vgpr to one Vgpr
	;; [unrolled: 1-line block ×4, first 2 shown]
v_mfma_f32_32x32x8f16 v[16+0:31+0], v[vgprValuB_X0_I0+0+0+0:vgprValuB_X0_I0+0+0+0+1], v[vgprValuA_X0_I0+2+0+0:vgprValuA_X0_I0+2+0+0+1], v[16:31]
/*  mfmaIndex:2  */
_ds_load_u16 v[vgprValuB_X1_I0+1], v[vgprLocalReadAddrB] offset:2560 // L -> Reg lro=1024 swapByteOffset=0 ti=32 vIdx=0 rIdx=2 oIdx=0 buffer=1 iui=0
_ds_load_u16_d16_hi v190, v[vgprLocalReadAddrB] offset:2816 // L -> Reg lro=1024 swapByteOffset=0 ti=32 vIdx=0 rIdx=3 oIdx=0 buffer=1 iui=0
_ds_load_u16 v[vgprValuA_X1_I0+2], v[vgprLocalReadAddrA] offset:4352 // L -> Reg lro=2048 swapByteOffset=0 ti=128 vIdx=1 rIdx=0 oIdx=0 buffer=1 iui=0
_ds_load_u16_d16_hi v187, v[vgprLocalReadAddrA] offset:4864 // L -> Reg lro=2048 swapByteOffset=0 ti=128 vIdx=1 rIdx=1 oIdx=0 buffer=1 iui=0
_ds_load_u16 v[vgprValuA_X1_I0+3], v[vgprLocalReadAddrA] offset:5376 // L -> Reg lro=2048 swapByteOffset=0 ti=128 vIdx=1 rIdx=2 oIdx=0 buffer=1 iui=0
_ds_load_u16_d16_hi v188, v[vgprLocalReadAddrA] offset:5888 // L -> Reg lro=2048 swapByteOffset=0 ti=128 vIdx=1 rIdx=3 oIdx=0 buffer=1 iui=0
s_addc_u32  s[sgprSrdB+1], s[sgprSrdB+1], 0        // gra SRD += inc(upper)
s_sub_u32 s[sgprShadowLimitB+0], s[sgprShadowLimitB+0], s[sgprGlobalReadIncsB+0] // limit -= inc)
s_subb_u32 s[sgprShadowLimitB+1], s[sgprShadowLimitB+1], 0 // limit -= inc)
s_cmp_eq_u32 s[sgprShadowLimitB+1], 0              // are we within 2^32?
s_cmov_b32 s[sgprSrdB+2], s[sgprShadowLimitB+0]    // Move shadow to real if we are within 2^32
/* pack scheduling: packAIdx:4, packBIdx:4 */
v_or_b32 v[vgprValuB_X0_I0+6], v[vgprValuB_X0_I0+6], v183 // pack two half Vgpr to one Vgpr
v_or_b32 v[vgprValuB_X0_I0+7], v[vgprValuB_X0_I0+7], v184 // pack two half Vgpr to one Vgpr
v_mfma_f32_32x32x8f16 v[48+0:63+0], v[vgprValuB_X0_I0+2+0+0:vgprValuB_X0_I0+2+0+0+1], v[vgprValuA_X0_I0+2+0+0:vgprValuA_X0_I0+2+0+0+1], v[48:63]
/*  mfmaIndex:3  */
_ds_load_u16 v[vgprValuB_X1_I0+2], v[vgprLocalReadAddrB] offset:2112 // L -> Reg lro=1024 swapByteOffset=0 ti=32 vIdx=1 rIdx=0 oIdx=0 buffer=1 iui=0
_ds_load_u16_d16_hi v191, v[vgprLocalReadAddrB] offset:2368 // L -> Reg lro=1024 swapByteOffset=0 ti=32 vIdx=1 rIdx=1 oIdx=0 buffer=1 iui=0
_ds_load_u16 v[vgprValuB_X1_I0+3], v[vgprLocalReadAddrB] offset:2624 // L -> Reg lro=1024 swapByteOffset=0 ti=32 vIdx=1 rIdx=2 oIdx=0 buffer=1 iui=0
_ds_load_u16_d16_hi v192, v[vgprLocalReadAddrB] offset:2880 // L -> Reg lro=1024 swapByteOffset=0 ti=32 vIdx=1 rIdx=3 oIdx=0 buffer=1 iui=0
	;; [unrolled: 2-line block ×3, first 2 shown]
v_mfma_f32_32x32x8f16 v[32+0:47+0], v[vgprValuB_X0_I0+2+0+0:vgprValuB_X0_I0+2+0+0+1], v[vgprValuA_X0_I0+0+0+0:vgprValuA_X0_I0+0+0+0+1], v[32:47]
/*  mfmaIndex:4  */
_ds_load_u16 v[vgprValuB_X1_I0+5], v[vgprLocalReadAddrB] offset:2688 // L -> Reg lro=1024 swapByteOffset=0 ti=32 vIdx=2 rIdx=2 oIdx=0 buffer=1 iui=0
_ds_load_u16_d16_hi v194, v[vgprLocalReadAddrB] offset:2944 // L -> Reg lro=1024 swapByteOffset=0 ti=32 vIdx=2 rIdx=3 oIdx=0 buffer=1 iui=0
_ds_load_u16 v[vgprValuB_X1_I0+6], v[vgprLocalReadAddrB] offset:2240 // L -> Reg lro=1024 swapByteOffset=0 ti=32 vIdx=3 rIdx=0 oIdx=0 buffer=1 iui=0
s_setprio 3                                        // store optimization
/* sched write - iter 0 writesPerItem=1 */
s_waitcnt vmcnt(0)                                 // lgkmcnt=-1 vmcnt=0wait for global read before writing to local
_ds_store_b128 v[vgprLocalWriteAddrA], v[vgprG2LA+0:vgprG2LA+0+3] offset:16384 // lwoA_0_0_0_0 = (0*LSCA) + (0*LSPA)(*MT0I+PAD) = 16384
v_mfma_f32_32x32x8f16 v[64+0:79+0], v[vgprValuB_X0_I0+4+0+0:vgprValuB_X0_I0+4+0+0+1], v[vgprValuA_X0_I0+0+0+0:vgprValuA_X0_I0+0+0+0+1], v[64:79]
/*  mfmaIndex:5  */
_ds_load_u16_d16_hi v195, v[vgprLocalReadAddrB] offset:2496 // L -> Reg lro=1024 swapByteOffset=0 ti=32 vIdx=3 rIdx=1 oIdx=0 buffer=1 iui=0
_ds_load_u16 v[vgprValuB_X1_I0+7], v[vgprLocalReadAddrB] offset:2752 // L -> Reg lro=1024 swapByteOffset=0 ti=32 vIdx=3 rIdx=2 oIdx=0 buffer=1 iui=0
_ds_load_u16_d16_hi v196, v[vgprLocalReadAddrB] offset:3008 // L -> Reg lro=1024 swapByteOffset=0 ti=32 vIdx=3 rIdx=3 oIdx=0 buffer=1 iui=0
/* localReadsVacancy: latencyLeft 7 */
_buffer_load_b128 v[vgprG2LA+0:vgprG2LA+0+3], v[vgprGlobalReadOffsetA+0], s[sgprSrdA:sgprSrdA+3], 0, offen offset:0 // G -> Reg 0_0_0_0
v_mfma_f32_32x32x8f16 v[80+0:95+0], v[vgprValuB_X0_I0+4+0+0:vgprValuB_X0_I0+4+0+0+1], v[vgprValuA_X0_I0+2+0+0:vgprValuA_X0_I0+2+0+0+1], v[80:95]
/*  mfmaIndex:6  */
/* localReadsVacancy: latencyLeft 3 */
/* sched write - iter 0 writesPerItem=1 */
s_waitcnt vmcnt(0)                                 // lgkmcnt=-1 vmcnt=0wait for global read before writing to local
_ds_store_b128 v[vgprLocalWriteAddrA], v[vgprG2LA+4:vgprG2LA+4+3] offset:20480 // lwoA_0_0_1_0 = (0*LSCA) + (1*LSPA)(*MT0I+PAD) = 20480
v_mfma_f32_32x32x8f16 v[112+0:127+0], v[vgprValuB_X0_I0+6+0+0:vgprValuB_X0_I0+6+0+0+1], v[vgprValuA_X0_I0+2+0+0:vgprValuA_X0_I0+2+0+0+1], v[112:127]
/*  mfmaIndex:7  */
/* localReadsVacancy: latencyLeft 13 */
_buffer_load_b128 v[vgprG2LA+4:vgprG2LA+4+3], v[vgprGlobalReadOffsetA+1], s[sgprSrdA:sgprSrdA+3], 0, offen offset:0 // G -> Reg 0_0_1_0

/* local read swap offsets a */

/* local read swap internal offset -> 16384 */

/* local read swap offsets b */

/* local read swap internal offset -> 16384 */

/* local read init pointers a */

/* localReadInitPointers */

/* local read init pointers b */

/* localReadInitPointers */
v_mfma_f32_32x32x8f16 v[96+0:111+0], v[vgprValuB_X0_I0+6+0+0:vgprValuB_X0_I0+6+0+0+1], v[vgprValuA_X0_I0+0+0+0:vgprValuA_X0_I0+0+0+0+1], v[96:111]
/* numPrefetchIter=0 */
/* dataAtIterA=-1 numReadsIterA=1 skipReadsIterA=1 readsPerIterA=8 */
/* dataAtIterB=-1 numReadsIterB=1 skipReadsIterB=1 readsPerIterB=16 */


/* iter 1 (swap and reset local write pointers iteration)  */

/*  grEndMfmaIndex:2, lwStartMfmaIndex:4, lwEndMfmaIndex:10  */
/*  numMfmaForLR:4, barrierMfmaIndex:11, LocalWritePerMfma:0.370 */
/*  mfmaIndex:8  */
s_waitcnt lgkmcnt(1)                               // lgkmcnt=0 vmcnt=-1wait for prior local read local write old=0, new=1 newLW=1 newLR=0
/* pack scheduling: packAIdx:2, packBIdx:2 */
v_or_b32 v[vgprValuA_X1_I0+0], v[vgprValuA_X1_I0+0], v185 // pack two half Vgpr to one Vgpr
v_or_b32 v[vgprValuA_X1_I0+1], v[vgprValuA_X1_I0+1], v186 // pack two half Vgpr to one Vgpr
v_or_b32 v[vgprValuB_X1_I0+0], v[vgprValuB_X1_I0+0], v189 // pack two half Vgpr to one Vgpr
v_or_b32 v[vgprValuB_X1_I0+1], v[vgprValuB_X1_I0+1], v190 // pack two half Vgpr to one Vgpr
v_or_b32 v[vgprValuA_X1_I0+2], v[vgprValuA_X1_I0+2], v187 // pack two half Vgpr to one Vgpr
v_or_b32 v[vgprValuA_X1_I0+3], v[vgprValuA_X1_I0+3], v188 // pack two half Vgpr to one Vgpr
v_mfma_f32_32x32x8f16 v[0+0:15+0], v[vgprValuB_X1_I0+0+0+0:vgprValuB_X1_I0+0+0+0+1], v[vgprValuA_X1_I0+0+0+0:vgprValuA_X1_I0+0+0+0+1], v[0:15]
/*  mfmaIndex:9  */
/* sched write - iter 1 writesPerItem=1 */
s_waitcnt vmcnt(0)                                 // lgkmcnt=-1 vmcnt=0wait for global read before writing to local
_ds_store_b128 v[vgprLocalWriteAddrB], v[vgprG2LB+0:vgprG2LB+0+3] offset:16384 // lwoB_0_0_0_0 = (0*LSCB) + (0*LSPB)(*MT1J+PAD) = 16384
/* pack scheduling: packAIdx:4, packBIdx:2 */
v_or_b32 v[vgprValuB_X1_I0+2], v[vgprValuB_X1_I0+2], v191 // pack two half Vgpr to one Vgpr
v_or_b32 v[vgprValuB_X1_I0+3], v[vgprValuB_X1_I0+3], v192 // pack two half Vgpr to one Vgpr
	;; [unrolled: 1-line block ×4, first 2 shown]
v_mfma_f32_32x32x8f16 v[16+0:31+0], v[vgprValuB_X1_I0+0+0+0:vgprValuB_X1_I0+0+0+0+1], v[vgprValuA_X1_I0+2+0+0:vgprValuA_X1_I0+2+0+0+1], v[16:31]
/*  mfmaIndex:10  */
_buffer_load_b128 v[vgprG2LB+0:vgprG2LB+0+3], v[vgprGlobalReadOffsetB+0], s[sgprSrdB:sgprSrdB+3], 0, offen offset:0 // G -> Reg 0_0_0_0

/* local write swap offsets a */

/* (EPS=1) local write swap internal offset -> 0 */

/* local write swap offsets b */

/* (EPS=1) local write swap internal offset -> 0 */
/* pack scheduling: packAIdx:4, packBIdx:4 */
v_or_b32 v[vgprValuB_X1_I0+6], v[vgprValuB_X1_I0+6], v195 // pack two half Vgpr to one Vgpr
v_or_b32 v[vgprValuB_X1_I0+7], v[vgprValuB_X1_I0+7], v196 // pack two half Vgpr to one Vgpr
v_mfma_f32_32x32x8f16 v[48+0:63+0], v[vgprValuB_X1_I0+2+0+0:vgprValuB_X1_I0+2+0+0+1], v[vgprValuA_X1_I0+2+0+0:vgprValuA_X1_I0+2+0+0+1], v[48:63]
s_setprio 0                                        // store optimization
/*  mfmaIndex:11  */
s_waitcnt lgkmcnt(0)                               // lgkmcnt=0 vmcnt=-13wait for local write
// Skip force waitcnt0
s_barrier //
v_mfma_f32_32x32x8f16 v[32+0:47+0], v[vgprValuB_X1_I0+2+0+0:vgprValuB_X1_I0+2+0+0+1], v[vgprValuA_X1_I0+0+0+0:vgprValuA_X1_I0+0+0+0+1], v[32:47]
/*  mfmaIndex:12  */
s_setprio 3                                        // store optimization
_ds_load_u16 v[vgprValuA_X0_I0+0], v[vgprLocalReadAddrA] offset:16384 // L -> Reg lro=0 swapByteOffset=16384 ti=128 vIdx=0 rIdx=0 oIdx=0 buffer=0 iui=0
_ds_load_u16_d16_hi v173, v[vgprLocalReadAddrA] offset:16896 // L -> Reg lro=0 swapByteOffset=16384 ti=128 vIdx=0 rIdx=1 oIdx=0 buffer=0 iui=0
_ds_load_u16 v[vgprValuA_X0_I0+1], v[vgprLocalReadAddrA] offset:17408 // L -> Reg lro=0 swapByteOffset=16384 ti=128 vIdx=0 rIdx=2 oIdx=0 buffer=0 iui=0
_ds_load_u16_d16_hi v174, v[vgprLocalReadAddrA] offset:17920 // L -> Reg lro=0 swapByteOffset=16384 ti=128 vIdx=0 rIdx=3 oIdx=0 buffer=0 iui=0
_ds_load_u16 v[vgprValuB_X0_I0+0], v[vgprLocalReadAddrB] offset:16384 // L -> Reg lro=0 swapByteOffset=16384 ti=32 vIdx=0 rIdx=0 oIdx=0 buffer=0 iui=0
_ds_load_u16_d16_hi v177, v[vgprLocalReadAddrB] offset:16640 // L -> Reg lro=0 swapByteOffset=16384 ti=32 vIdx=0 rIdx=1 oIdx=0 buffer=0 iui=0
v_mfma_f32_32x32x8f16 v[64+0:79+0], v[vgprValuB_X1_I0+4+0+0:vgprValuB_X1_I0+4+0+0+1], v[vgprValuA_X1_I0+0+0+0:vgprValuA_X1_I0+0+0+0+1], v[64:79]
/*  mfmaIndex:13  */
_ds_load_u16 v[vgprValuB_X0_I0+1], v[vgprLocalReadAddrB] offset:16896 // L -> Reg lro=0 swapByteOffset=16384 ti=32 vIdx=0 rIdx=2 oIdx=0 buffer=0 iui=0
_ds_load_u16_d16_hi v178, v[vgprLocalReadAddrB] offset:17152 // L -> Reg lro=0 swapByteOffset=16384 ti=32 vIdx=0 rIdx=3 oIdx=0 buffer=0 iui=0
_ds_load_u16 v[vgprValuA_X0_I0+2], v[vgprLocalReadAddrA] offset:16640 // L -> Reg lro=0 swapByteOffset=16384 ti=128 vIdx=1 rIdx=0 oIdx=0 buffer=0 iui=0
_ds_load_u16_d16_hi v175, v[vgprLocalReadAddrA] offset:17152 // L -> Reg lro=0 swapByteOffset=16384 ti=128 vIdx=1 rIdx=1 oIdx=0 buffer=0 iui=0
_ds_load_u16 v[vgprValuA_X0_I0+3], v[vgprLocalReadAddrA] offset:17664 // L -> Reg lro=0 swapByteOffset=16384 ti=128 vIdx=1 rIdx=2 oIdx=0 buffer=0 iui=0
_ds_load_u16_d16_hi v176, v[vgprLocalReadAddrA] offset:18176 // L -> Reg lro=0 swapByteOffset=16384 ti=128 vIdx=1 rIdx=3 oIdx=0 buffer=0 iui=0
v_mfma_f32_32x32x8f16 v[80+0:95+0], v[vgprValuB_X1_I0+4+0+0:vgprValuB_X1_I0+4+0+0+1], v[vgprValuA_X1_I0+2+0+0:vgprValuA_X1_I0+2+0+0+1], v[80:95]
/*  mfmaIndex:14  */
_ds_load_u16 v[vgprValuB_X0_I0+2], v[vgprLocalReadAddrB] offset:16448 // L -> Reg lro=0 swapByteOffset=16384 ti=32 vIdx=1 rIdx=0 oIdx=0 buffer=0 iui=0
_ds_load_u16_d16_hi v179, v[vgprLocalReadAddrB] offset:16704 // L -> Reg lro=0 swapByteOffset=16384 ti=32 vIdx=1 rIdx=1 oIdx=0 buffer=0 iui=0
_ds_load_u16 v[vgprValuB_X0_I0+3], v[vgprLocalReadAddrB] offset:16960 // L -> Reg lro=0 swapByteOffset=16384 ti=32 vIdx=1 rIdx=2 oIdx=0 buffer=0 iui=0
_ds_load_u16_d16_hi v180, v[vgprLocalReadAddrB] offset:17216 // L -> Reg lro=0 swapByteOffset=16384 ti=32 vIdx=1 rIdx=3 oIdx=0 buffer=0 iui=0
	;; [unrolled: 2-line block ×3, first 2 shown]
v_mfma_f32_32x32x8f16 v[112+0:127+0], v[vgprValuB_X1_I0+6+0+0:vgprValuB_X1_I0+6+0+0+1], v[vgprValuA_X1_I0+2+0+0:vgprValuA_X1_I0+2+0+0+1], v[112:127]
/*  mfmaIndex:15  */
_ds_load_u16 v[vgprValuB_X0_I0+5], v[vgprLocalReadAddrB] offset:17024 // L -> Reg lro=0 swapByteOffset=16384 ti=32 vIdx=2 rIdx=2 oIdx=0 buffer=0 iui=0
_ds_load_u16_d16_hi v182, v[vgprLocalReadAddrB] offset:17280 // L -> Reg lro=0 swapByteOffset=16384 ti=32 vIdx=2 rIdx=3 oIdx=0 buffer=0 iui=0
_ds_load_u16 v[vgprValuB_X0_I0+6], v[vgprLocalReadAddrB] offset:16576 // L -> Reg lro=0 swapByteOffset=16384 ti=32 vIdx=3 rIdx=0 oIdx=0 buffer=0 iui=0
_ds_load_u16_d16_hi v183, v[vgprLocalReadAddrB] offset:16832 // L -> Reg lro=0 swapByteOffset=16384 ti=32 vIdx=3 rIdx=1 oIdx=0 buffer=0 iui=0
_ds_load_u16 v[vgprValuB_X0_I0+7], v[vgprLocalReadAddrB] offset:17088 // L -> Reg lro=0 swapByteOffset=16384 ti=32 vIdx=3 rIdx=2 oIdx=0 buffer=0 iui=0
_ds_load_u16_d16_hi v184, v[vgprLocalReadAddrB] offset:17344 // L -> Reg lro=0 swapByteOffset=16384 ti=32 vIdx=3 rIdx=3 oIdx=0 buffer=0 iui=0
v_mfma_f32_32x32x8f16 v[96+0:111+0], v[vgprValuB_X1_I0+6+0+0:vgprValuB_X1_I0+6+0+0+1], v[vgprValuA_X1_I0+0+0+0:vgprValuA_X1_I0+0+0+0+1], v[96:111]
s_setprio 0                                        // store optimization
/* numPrefetchIter=1 */
/* dataAtIterA=0 numReadsIterA=1 skipReadsIterA=1 readsPerIterA=8 */
/* dataAtIterB=0 numReadsIterB=1 skipReadsIterB=1 readsPerIterB=16 */


/******************************************/
/* Unrolled Loop - End 1/2                */
/******************************************/


/* closeLoop loopL finalLoop=0 tailLoop=0 */
s_sub_u32 s[sgprLoopCounterL], s[sgprLoopCounterL], 1 // dec counterL
s_cmp_eq_i32 s[sgprLoopCounterL], 0x2              // counterL==2
s_cbranch_scc1 LoopEndL_oddexit_3                  // exit LoopL


/******************************************/
/* Unrolled Loop 2/2 - Begin              */
/******************************************/

label_0016: // LoopCopy2 


/* Begin Each Unroll: Check VGPR.checkin for INT8 LW */


	;; [unrolled: 1-line block ×3, first 2 shown]
/* iter 0 (reset local read pointers iteration)  (swap local read pointers iteration)  */

/*  grEndMfmaIndex:2, lwStartMfmaIndex:4, lwEndMfmaIndex:10  */
/*  numMfmaForLR:4, barrierMfmaIndex:11, LocalWritePerMfma:0.370 */
/*  mfmaIndex:0  */
s_waitcnt lgkmcnt(0)                               // lgkmcnt=0 vmcnt=-1wait for prior local read local write old=0, new=0 newLW=0 newLR=0
/* pack scheduling: packAIdx:2, packBIdx:2 */
v_or_b32 v[vgprValuA_X0_I0+0], v[vgprValuA_X0_I0+0], v173 // pack two half Vgpr to one Vgpr
v_or_b32 v[vgprValuA_X0_I0+1], v[vgprValuA_X0_I0+1], v174 // pack two half Vgpr to one Vgpr
v_or_b32 v[vgprValuB_X0_I0+0], v[vgprValuB_X0_I0+0], v177 // pack two half Vgpr to one Vgpr
v_or_b32 v[vgprValuB_X0_I0+1], v[vgprValuB_X0_I0+1], v178 // pack two half Vgpr to one Vgpr
v_or_b32 v[vgprValuA_X0_I0+2], v[vgprValuA_X0_I0+2], v175 // pack two half Vgpr to one Vgpr
v_or_b32 v[vgprValuA_X0_I0+3], v[vgprValuA_X0_I0+3], v176 // pack two half Vgpr to one Vgpr
v_mfma_f32_32x32x8f16 v[0+0:15+0], v[vgprValuB_X0_I0+0+0+0:vgprValuB_X0_I0+0+0+0+1], v[vgprValuA_X0_I0+0+0+0:vgprValuA_X0_I0+0+0+0+1], v[0:15]
/*  mfmaIndex:1  */
_ds_load_u16 v[vgprValuA_X1_I0+0], v[vgprLocalReadAddrA] offset:20480 // L -> Reg lro=2048 swapByteOffset=16384 ti=128 vIdx=0 rIdx=0 oIdx=0 buffer=1 iui=0
_ds_load_u16_d16_hi v185, v[vgprLocalReadAddrA] offset:20992 // L -> Reg lro=2048 swapByteOffset=16384 ti=128 vIdx=0 rIdx=1 oIdx=0 buffer=1 iui=0
_ds_load_u16 v[vgprValuA_X1_I0+1], v[vgprLocalReadAddrA] offset:21504 // L -> Reg lro=2048 swapByteOffset=16384 ti=128 vIdx=0 rIdx=2 oIdx=0 buffer=1 iui=0
_ds_load_u16_d16_hi v186, v[vgprLocalReadAddrA] offset:22016 // L -> Reg lro=2048 swapByteOffset=16384 ti=128 vIdx=0 rIdx=3 oIdx=0 buffer=1 iui=0
_ds_load_u16 v[vgprValuB_X1_I0+0], v[vgprLocalReadAddrB] offset:18432 // L -> Reg lro=1024 swapByteOffset=16384 ti=32 vIdx=0 rIdx=0 oIdx=0 buffer=1 iui=0
_ds_load_u16_d16_hi v189, v[vgprLocalReadAddrB] offset:18688 // L -> Reg lro=1024 swapByteOffset=16384 ti=32 vIdx=0 rIdx=1 oIdx=0 buffer=1 iui=0

/* global read inc A loopL */
s_add_u32 s[sgprSrdA+0], s[sgprSrdA+0], s[sgprGlobalReadIncsA+0] // gra SRD += inc(lower)
s_addc_u32  s[sgprSrdA+1], s[sgprSrdA+1], 0        // gra SRD += inc(upper)
s_sub_u32 s[sgprShadowLimitA+0], s[sgprShadowLimitA+0], s[sgprGlobalReadIncsA+0] // limit -= inc)
s_subb_u32 s[sgprShadowLimitA+1], s[sgprShadowLimitA+1], 0 // limit -= inc)
s_cmp_eq_u32 s[sgprShadowLimitA+1], 0              // are we within 2^32?
s_cmov_b32 s[sgprSrdA+2], s[sgprShadowLimitA+0]    // Move shadow to real if we are within 2^32

/* global read inc B loopL */
s_add_u32 s[sgprSrdB+0], s[sgprSrdB+0], s[sgprGlobalReadIncsB+0] // gra SRD += inc(lower)
/* pack scheduling: packAIdx:4, packBIdx:2 */
v_or_b32 v[vgprValuB_X0_I0+2], v[vgprValuB_X0_I0+2], v179 // pack two half Vgpr to one Vgpr
v_or_b32 v[vgprValuB_X0_I0+3], v[vgprValuB_X0_I0+3], v180 // pack two half Vgpr to one Vgpr
	;; [unrolled: 1-line block ×4, first 2 shown]
v_mfma_f32_32x32x8f16 v[16+0:31+0], v[vgprValuB_X0_I0+0+0+0:vgprValuB_X0_I0+0+0+0+1], v[vgprValuA_X0_I0+2+0+0:vgprValuA_X0_I0+2+0+0+1], v[16:31]
/*  mfmaIndex:2  */
_ds_load_u16 v[vgprValuB_X1_I0+1], v[vgprLocalReadAddrB] offset:18944 // L -> Reg lro=1024 swapByteOffset=16384 ti=32 vIdx=0 rIdx=2 oIdx=0 buffer=1 iui=0
_ds_load_u16_d16_hi v190, v[vgprLocalReadAddrB] offset:19200 // L -> Reg lro=1024 swapByteOffset=16384 ti=32 vIdx=0 rIdx=3 oIdx=0 buffer=1 iui=0
_ds_load_u16 v[vgprValuA_X1_I0+2], v[vgprLocalReadAddrA] offset:20736 // L -> Reg lro=2048 swapByteOffset=16384 ti=128 vIdx=1 rIdx=0 oIdx=0 buffer=1 iui=0
_ds_load_u16_d16_hi v187, v[vgprLocalReadAddrA] offset:21248 // L -> Reg lro=2048 swapByteOffset=16384 ti=128 vIdx=1 rIdx=1 oIdx=0 buffer=1 iui=0
_ds_load_u16 v[vgprValuA_X1_I0+3], v[vgprLocalReadAddrA] offset:21760 // L -> Reg lro=2048 swapByteOffset=16384 ti=128 vIdx=1 rIdx=2 oIdx=0 buffer=1 iui=0
_ds_load_u16_d16_hi v188, v[vgprLocalReadAddrA] offset:22272 // L -> Reg lro=2048 swapByteOffset=16384 ti=128 vIdx=1 rIdx=3 oIdx=0 buffer=1 iui=0
s_addc_u32  s[sgprSrdB+1], s[sgprSrdB+1], 0        // gra SRD += inc(upper)
s_sub_u32 s[sgprShadowLimitB+0], s[sgprShadowLimitB+0], s[sgprGlobalReadIncsB+0] // limit -= inc)
s_subb_u32 s[sgprShadowLimitB+1], s[sgprShadowLimitB+1], 0 // limit -= inc)
s_cmp_eq_u32 s[sgprShadowLimitB+1], 0              // are we within 2^32?
s_cmov_b32 s[sgprSrdB+2], s[sgprShadowLimitB+0]    // Move shadow to real if we are within 2^32
/* pack scheduling: packAIdx:4, packBIdx:4 */
v_or_b32 v[vgprValuB_X0_I0+6], v[vgprValuB_X0_I0+6], v183 // pack two half Vgpr to one Vgpr
v_or_b32 v[vgprValuB_X0_I0+7], v[vgprValuB_X0_I0+7], v184 // pack two half Vgpr to one Vgpr
v_mfma_f32_32x32x8f16 v[48+0:63+0], v[vgprValuB_X0_I0+2+0+0:vgprValuB_X0_I0+2+0+0+1], v[vgprValuA_X0_I0+2+0+0:vgprValuA_X0_I0+2+0+0+1], v[48:63]
/*  mfmaIndex:3  */
_ds_load_u16 v[vgprValuB_X1_I0+2], v[vgprLocalReadAddrB] offset:18496 // L -> Reg lro=1024 swapByteOffset=16384 ti=32 vIdx=1 rIdx=0 oIdx=0 buffer=1 iui=0
_ds_load_u16_d16_hi v191, v[vgprLocalReadAddrB] offset:18752 // L -> Reg lro=1024 swapByteOffset=16384 ti=32 vIdx=1 rIdx=1 oIdx=0 buffer=1 iui=0
_ds_load_u16 v[vgprValuB_X1_I0+3], v[vgprLocalReadAddrB] offset:19008 // L -> Reg lro=1024 swapByteOffset=16384 ti=32 vIdx=1 rIdx=2 oIdx=0 buffer=1 iui=0
_ds_load_u16_d16_hi v192, v[vgprLocalReadAddrB] offset:19264 // L -> Reg lro=1024 swapByteOffset=16384 ti=32 vIdx=1 rIdx=3 oIdx=0 buffer=1 iui=0
	;; [unrolled: 2-line block ×3, first 2 shown]
v_mfma_f32_32x32x8f16 v[32+0:47+0], v[vgprValuB_X0_I0+2+0+0:vgprValuB_X0_I0+2+0+0+1], v[vgprValuA_X0_I0+0+0+0:vgprValuA_X0_I0+0+0+0+1], v[32:47]
/*  mfmaIndex:4  */
_ds_load_u16 v[vgprValuB_X1_I0+5], v[vgprLocalReadAddrB] offset:19072 // L -> Reg lro=1024 swapByteOffset=16384 ti=32 vIdx=2 rIdx=2 oIdx=0 buffer=1 iui=0
_ds_load_u16_d16_hi v194, v[vgprLocalReadAddrB] offset:19328 // L -> Reg lro=1024 swapByteOffset=16384 ti=32 vIdx=2 rIdx=3 oIdx=0 buffer=1 iui=0
_ds_load_u16 v[vgprValuB_X1_I0+6], v[vgprLocalReadAddrB] offset:18624 // L -> Reg lro=1024 swapByteOffset=16384 ti=32 vIdx=3 rIdx=0 oIdx=0 buffer=1 iui=0
s_setprio 3                                        // store optimization
/* sched write - iter 0 writesPerItem=1 */
s_waitcnt vmcnt(0)                                 // lgkmcnt=-1 vmcnt=0wait for global read before writing to local
_ds_store_b128 v[vgprLocalWriteAddrA], v[vgprG2LA+0:vgprG2LA+0+3] offset:0 // lwoA_0_0_0_0 = (0*LSCA) + (0*LSPA)(*MT0I+PAD) = 0
v_mfma_f32_32x32x8f16 v[64+0:79+0], v[vgprValuB_X0_I0+4+0+0:vgprValuB_X0_I0+4+0+0+1], v[vgprValuA_X0_I0+0+0+0:vgprValuA_X0_I0+0+0+0+1], v[64:79]
/*  mfmaIndex:5  */
_ds_load_u16_d16_hi v195, v[vgprLocalReadAddrB] offset:18880 // L -> Reg lro=1024 swapByteOffset=16384 ti=32 vIdx=3 rIdx=1 oIdx=0 buffer=1 iui=0
_ds_load_u16 v[vgprValuB_X1_I0+7], v[vgprLocalReadAddrB] offset:19136 // L -> Reg lro=1024 swapByteOffset=16384 ti=32 vIdx=3 rIdx=2 oIdx=0 buffer=1 iui=0
_ds_load_u16_d16_hi v196, v[vgprLocalReadAddrB] offset:19392 // L -> Reg lro=1024 swapByteOffset=16384 ti=32 vIdx=3 rIdx=3 oIdx=0 buffer=1 iui=0
/* localReadsVacancy: latencyLeft 7 */
_buffer_load_b128 v[vgprG2LA+0:vgprG2LA+0+3], v[vgprGlobalReadOffsetA+0], s[sgprSrdA:sgprSrdA+3], 0, offen offset:0 // G -> Reg 0_0_0_0
v_mfma_f32_32x32x8f16 v[80+0:95+0], v[vgprValuB_X0_I0+4+0+0:vgprValuB_X0_I0+4+0+0+1], v[vgprValuA_X0_I0+2+0+0:vgprValuA_X0_I0+2+0+0+1], v[80:95]
/*  mfmaIndex:6  */
/* localReadsVacancy: latencyLeft 3 */
/* sched write - iter 0 writesPerItem=1 */
s_waitcnt vmcnt(0)                                 // lgkmcnt=-1 vmcnt=0wait for global read before writing to local
_ds_store_b128 v[vgprLocalWriteAddrA], v[vgprG2LA+4:vgprG2LA+4+3] offset:4096 // lwoA_0_0_1_0 = (0*LSCA) + (1*LSPA)(*MT0I+PAD) = 4096
v_mfma_f32_32x32x8f16 v[112+0:127+0], v[vgprValuB_X0_I0+6+0+0:vgprValuB_X0_I0+6+0+0+1], v[vgprValuA_X0_I0+2+0+0:vgprValuA_X0_I0+2+0+0+1], v[112:127]
/*  mfmaIndex:7  */
/* localReadsVacancy: latencyLeft 13 */
_buffer_load_b128 v[vgprG2LA+4:vgprG2LA+4+3], v[vgprGlobalReadOffsetA+1], s[sgprSrdA:sgprSrdA+3], 0, offen offset:0 // G -> Reg 0_0_1_0

/* local read swap offsets a */

/* local read swap internal offset -> 0 */

/* local read swap offsets b */

/* local read swap internal offset -> 0 */

/* local read init pointers a */

/* localReadInitPointers */

/* local read init pointers b */

/* localReadInitPointers */
v_mfma_f32_32x32x8f16 v[96+0:111+0], v[vgprValuB_X0_I0+6+0+0:vgprValuB_X0_I0+6+0+0+1], v[vgprValuA_X0_I0+0+0+0:vgprValuA_X0_I0+0+0+0+1], v[96:111]
/* numPrefetchIter=0 */
/* dataAtIterA=-1 numReadsIterA=1 skipReadsIterA=1 readsPerIterA=8 */
/* dataAtIterB=-1 numReadsIterB=1 skipReadsIterB=1 readsPerIterB=16 */


/* iter 1 (swap and reset local write pointers iteration)  */

/*  grEndMfmaIndex:2, lwStartMfmaIndex:4, lwEndMfmaIndex:10  */
/*  numMfmaForLR:4, barrierMfmaIndex:11, LocalWritePerMfma:0.370 */
/*  mfmaIndex:8  */
s_waitcnt lgkmcnt(1)                               // lgkmcnt=0 vmcnt=-1wait for prior local read local write old=0, new=1 newLW=1 newLR=0
/* pack scheduling: packAIdx:2, packBIdx:2 */
v_or_b32 v[vgprValuA_X1_I0+0], v[vgprValuA_X1_I0+0], v185 // pack two half Vgpr to one Vgpr
v_or_b32 v[vgprValuA_X1_I0+1], v[vgprValuA_X1_I0+1], v186 // pack two half Vgpr to one Vgpr
v_or_b32 v[vgprValuB_X1_I0+0], v[vgprValuB_X1_I0+0], v189 // pack two half Vgpr to one Vgpr
v_or_b32 v[vgprValuB_X1_I0+1], v[vgprValuB_X1_I0+1], v190 // pack two half Vgpr to one Vgpr
v_or_b32 v[vgprValuA_X1_I0+2], v[vgprValuA_X1_I0+2], v187 // pack two half Vgpr to one Vgpr
v_or_b32 v[vgprValuA_X1_I0+3], v[vgprValuA_X1_I0+3], v188 // pack two half Vgpr to one Vgpr
v_mfma_f32_32x32x8f16 v[0+0:15+0], v[vgprValuB_X1_I0+0+0+0:vgprValuB_X1_I0+0+0+0+1], v[vgprValuA_X1_I0+0+0+0:vgprValuA_X1_I0+0+0+0+1], v[0:15]
/*  mfmaIndex:9  */
/* sched write - iter 1 writesPerItem=1 */
s_waitcnt vmcnt(0)                                 // lgkmcnt=-1 vmcnt=0wait for global read before writing to local
_ds_store_b128 v[vgprLocalWriteAddrB], v[vgprG2LB+0:vgprG2LB+0+3] offset:0 // lwoB_0_0_0_0 = (0*LSCB) + (0*LSPB)(*MT1J+PAD) = 0
/* pack scheduling: packAIdx:4, packBIdx:2 */
v_or_b32 v[vgprValuB_X1_I0+2], v[vgprValuB_X1_I0+2], v191 // pack two half Vgpr to one Vgpr
v_or_b32 v[vgprValuB_X1_I0+3], v[vgprValuB_X1_I0+3], v192 // pack two half Vgpr to one Vgpr
	;; [unrolled: 1-line block ×4, first 2 shown]
v_mfma_f32_32x32x8f16 v[16+0:31+0], v[vgprValuB_X1_I0+0+0+0:vgprValuB_X1_I0+0+0+0+1], v[vgprValuA_X1_I0+2+0+0:vgprValuA_X1_I0+2+0+0+1], v[16:31]
/*  mfmaIndex:10  */
_buffer_load_b128 v[vgprG2LB+0:vgprG2LB+0+3], v[vgprGlobalReadOffsetB+0], s[sgprSrdB:sgprSrdB+3], 0, offen offset:0 // G -> Reg 0_0_0_0

/* local write swap offsets a */

/* (EPS=1) local write swap internal offset -> 16384 */

/* local write swap offsets b */

/* (EPS=1) local write swap internal offset -> 16384 */
/* pack scheduling: packAIdx:4, packBIdx:4 */
v_or_b32 v[vgprValuB_X1_I0+6], v[vgprValuB_X1_I0+6], v195 // pack two half Vgpr to one Vgpr
v_or_b32 v[vgprValuB_X1_I0+7], v[vgprValuB_X1_I0+7], v196 // pack two half Vgpr to one Vgpr
v_mfma_f32_32x32x8f16 v[48+0:63+0], v[vgprValuB_X1_I0+2+0+0:vgprValuB_X1_I0+2+0+0+1], v[vgprValuA_X1_I0+2+0+0:vgprValuA_X1_I0+2+0+0+1], v[48:63]
s_setprio 0                                        // store optimization
/*  mfmaIndex:11  */
s_waitcnt lgkmcnt(0)                               // lgkmcnt=0 vmcnt=-13wait for local write
// Skip force waitcnt0
s_barrier //
v_mfma_f32_32x32x8f16 v[32+0:47+0], v[vgprValuB_X1_I0+2+0+0:vgprValuB_X1_I0+2+0+0+1], v[vgprValuA_X1_I0+0+0+0:vgprValuA_X1_I0+0+0+0+1], v[32:47]
/*  mfmaIndex:12  */
s_setprio 3                                        // store optimization
_ds_load_u16 v[vgprValuA_X0_I0+0], v[vgprLocalReadAddrA] offset:0 // L -> Reg lro=0 swapByteOffset=0 ti=128 vIdx=0 rIdx=0 oIdx=0 buffer=0 iui=0
_ds_load_u16_d16_hi v173, v[vgprLocalReadAddrA] offset:512 // L -> Reg lro=0 swapByteOffset=0 ti=128 vIdx=0 rIdx=1 oIdx=0 buffer=0 iui=0
_ds_load_u16 v[vgprValuA_X0_I0+1], v[vgprLocalReadAddrA] offset:1024 // L -> Reg lro=0 swapByteOffset=0 ti=128 vIdx=0 rIdx=2 oIdx=0 buffer=0 iui=0
_ds_load_u16_d16_hi v174, v[vgprLocalReadAddrA] offset:1536 // L -> Reg lro=0 swapByteOffset=0 ti=128 vIdx=0 rIdx=3 oIdx=0 buffer=0 iui=0
_ds_load_u16 v[vgprValuB_X0_I0+0], v[vgprLocalReadAddrB] offset:0 // L -> Reg lro=0 swapByteOffset=0 ti=32 vIdx=0 rIdx=0 oIdx=0 buffer=0 iui=0
_ds_load_u16_d16_hi v177, v[vgprLocalReadAddrB] offset:256 // L -> Reg lro=0 swapByteOffset=0 ti=32 vIdx=0 rIdx=1 oIdx=0 buffer=0 iui=0
v_mfma_f32_32x32x8f16 v[64+0:79+0], v[vgprValuB_X1_I0+4+0+0:vgprValuB_X1_I0+4+0+0+1], v[vgprValuA_X1_I0+0+0+0:vgprValuA_X1_I0+0+0+0+1], v[64:79]
/*  mfmaIndex:13  */
_ds_load_u16 v[vgprValuB_X0_I0+1], v[vgprLocalReadAddrB] offset:512 // L -> Reg lro=0 swapByteOffset=0 ti=32 vIdx=0 rIdx=2 oIdx=0 buffer=0 iui=0
_ds_load_u16_d16_hi v178, v[vgprLocalReadAddrB] offset:768 // L -> Reg lro=0 swapByteOffset=0 ti=32 vIdx=0 rIdx=3 oIdx=0 buffer=0 iui=0
_ds_load_u16 v[vgprValuA_X0_I0+2], v[vgprLocalReadAddrA] offset:256 // L -> Reg lro=0 swapByteOffset=0 ti=128 vIdx=1 rIdx=0 oIdx=0 buffer=0 iui=0
_ds_load_u16_d16_hi v175, v[vgprLocalReadAddrA] offset:768 // L -> Reg lro=0 swapByteOffset=0 ti=128 vIdx=1 rIdx=1 oIdx=0 buffer=0 iui=0
_ds_load_u16 v[vgprValuA_X0_I0+3], v[vgprLocalReadAddrA] offset:1280 // L -> Reg lro=0 swapByteOffset=0 ti=128 vIdx=1 rIdx=2 oIdx=0 buffer=0 iui=0
_ds_load_u16_d16_hi v176, v[vgprLocalReadAddrA] offset:1792 // L -> Reg lro=0 swapByteOffset=0 ti=128 vIdx=1 rIdx=3 oIdx=0 buffer=0 iui=0
v_mfma_f32_32x32x8f16 v[80+0:95+0], v[vgprValuB_X1_I0+4+0+0:vgprValuB_X1_I0+4+0+0+1], v[vgprValuA_X1_I0+2+0+0:vgprValuA_X1_I0+2+0+0+1], v[80:95]
/*  mfmaIndex:14  */
_ds_load_u16 v[vgprValuB_X0_I0+2], v[vgprLocalReadAddrB] offset:64 // L -> Reg lro=0 swapByteOffset=0 ti=32 vIdx=1 rIdx=0 oIdx=0 buffer=0 iui=0
_ds_load_u16_d16_hi v179, v[vgprLocalReadAddrB] offset:320 // L -> Reg lro=0 swapByteOffset=0 ti=32 vIdx=1 rIdx=1 oIdx=0 buffer=0 iui=0
_ds_load_u16 v[vgprValuB_X0_I0+3], v[vgprLocalReadAddrB] offset:576 // L -> Reg lro=0 swapByteOffset=0 ti=32 vIdx=1 rIdx=2 oIdx=0 buffer=0 iui=0
_ds_load_u16_d16_hi v180, v[vgprLocalReadAddrB] offset:832 // L -> Reg lro=0 swapByteOffset=0 ti=32 vIdx=1 rIdx=3 oIdx=0 buffer=0 iui=0
	;; [unrolled: 2-line block ×3, first 2 shown]
v_mfma_f32_32x32x8f16 v[112+0:127+0], v[vgprValuB_X1_I0+6+0+0:vgprValuB_X1_I0+6+0+0+1], v[vgprValuA_X1_I0+2+0+0:vgprValuA_X1_I0+2+0+0+1], v[112:127]
/*  mfmaIndex:15  */
_ds_load_u16 v[vgprValuB_X0_I0+5], v[vgprLocalReadAddrB] offset:640 // L -> Reg lro=0 swapByteOffset=0 ti=32 vIdx=2 rIdx=2 oIdx=0 buffer=0 iui=0
_ds_load_u16_d16_hi v182, v[vgprLocalReadAddrB] offset:896 // L -> Reg lro=0 swapByteOffset=0 ti=32 vIdx=2 rIdx=3 oIdx=0 buffer=0 iui=0
_ds_load_u16 v[vgprValuB_X0_I0+6], v[vgprLocalReadAddrB] offset:192 // L -> Reg lro=0 swapByteOffset=0 ti=32 vIdx=3 rIdx=0 oIdx=0 buffer=0 iui=0
_ds_load_u16_d16_hi v183, v[vgprLocalReadAddrB] offset:448 // L -> Reg lro=0 swapByteOffset=0 ti=32 vIdx=3 rIdx=1 oIdx=0 buffer=0 iui=0
	;; [unrolled: 2-line block ×3, first 2 shown]
v_mfma_f32_32x32x8f16 v[96+0:111+0], v[vgprValuB_X1_I0+6+0+0:vgprValuB_X1_I0+6+0+0+1], v[vgprValuA_X1_I0+0+0+0:vgprValuA_X1_I0+0+0+0+1], v[96:111]
s_setprio 0                                        // store optimization
/* numPrefetchIter=1 */
/* dataAtIterA=0 numReadsIterA=1 skipReadsIterA=1 readsPerIterA=8 */
/* dataAtIterB=0 numReadsIterB=1 skipReadsIterB=1 readsPerIterB=16 */


/******************************************/
/* Unrolled Loop - End 2/2 (final)        */
/******************************************/


/* closeLoop loopL finalLoop=1 tailLoop=0 */
s_sub_u32 s[sgprLoopCounterL], s[sgprLoopCounterL], 1 // dec counterL
s_cmp_eq_i32 s[sgprLoopCounterL], 0x2              // counterL==2
s_cbranch_scc0 LoopBeginL_1                        // restart LoopL
LoopEndL_evenexit_4: // unroll loop eveniter exit
v_xor_b32 v[vgprLocalWriteAddrA+0], 0x4000, v[vgprLocalWriteAddrA+0] // swap Red Blk
v_xor_b32 v[vgprLocalWriteAddrB+0], 0x4000, v[vgprLocalWriteAddrB+0] // swap Red Blk

/* (EPS=1) local write swap internal offset -> 0 */

/* (EPS=1) local write swap internal offset -> 0 */
s_branch LoopEndL_2                                // exit unroll loopL (and skip second exit code)
LoopEndL_oddexit_3: // unroll loop odditer exit

/* Select high bank of LDS */
v_xor_b32 v[vgprLocalReadAddrA], 0x4000, v[vgprLocalReadAddrA] // swap Red Blk
v_xor_b32 v[vgprLocalReadAddrB], 0x4000, v[vgprLocalReadAddrB] // swap Red Blk
LoopEndL_2:


/* Before NLL: Check VGPR.checkin for INT8 LW */


/******************************************/
/* Ord. NoGlobalLoadLoop - Begin                                      */
/******************************************/


	;; [unrolled: 1-line block ×3, first 2 shown]
/* iter 0 (reset local read pointers iteration)  (swap local read pointers iteration)  */

/*  grEndMfmaIndex:2, lwStartMfmaIndex:4, lwEndMfmaIndex:10  */
/*  numMfmaForLR:4, barrierMfmaIndex:11, LocalWritePerMfma:0.370 */
/*  mfmaIndex:0  */
s_waitcnt lgkmcnt(0)                               // lgkmcnt=0 vmcnt=-1wait for prior local read local write old=0, new=0 newLW=0 newLR=0
/* pack scheduling: packAIdx:2, packBIdx:2 */
v_or_b32 v[vgprValuA_X0_I0+0], v[vgprValuA_X0_I0+0], v173 // pack two half Vgpr to one Vgpr
v_or_b32 v[vgprValuA_X0_I0+1], v[vgprValuA_X0_I0+1], v174 // pack two half Vgpr to one Vgpr
v_or_b32 v[vgprValuB_X0_I0+0], v[vgprValuB_X0_I0+0], v177 // pack two half Vgpr to one Vgpr
v_or_b32 v[vgprValuB_X0_I0+1], v[vgprValuB_X0_I0+1], v178 // pack two half Vgpr to one Vgpr
v_or_b32 v[vgprValuA_X0_I0+2], v[vgprValuA_X0_I0+2], v175 // pack two half Vgpr to one Vgpr
v_or_b32 v[vgprValuA_X0_I0+3], v[vgprValuA_X0_I0+3], v176 // pack two half Vgpr to one Vgpr
v_mfma_f32_32x32x8f16 v[0+0:15+0], v[vgprValuB_X0_I0+0+0+0:vgprValuB_X0_I0+0+0+0+1], v[vgprValuA_X0_I0+0+0+0:vgprValuA_X0_I0+0+0+0+1], v[0:15]
/*  mfmaIndex:1  */
_ds_load_u16 v[vgprValuA_X1_I0+0], v[vgprLocalReadAddrA] offset:4096 // L -> Reg lro=2048 swapByteOffset=0 ti=128 vIdx=0 rIdx=0 oIdx=0 buffer=1 iui=0
_ds_load_u16_d16_hi v185, v[vgprLocalReadAddrA] offset:4608 // L -> Reg lro=2048 swapByteOffset=0 ti=128 vIdx=0 rIdx=1 oIdx=0 buffer=1 iui=0
_ds_load_u16 v[vgprValuA_X1_I0+1], v[vgprLocalReadAddrA] offset:5120 // L -> Reg lro=2048 swapByteOffset=0 ti=128 vIdx=0 rIdx=2 oIdx=0 buffer=1 iui=0
_ds_load_u16_d16_hi v186, v[vgprLocalReadAddrA] offset:5632 // L -> Reg lro=2048 swapByteOffset=0 ti=128 vIdx=0 rIdx=3 oIdx=0 buffer=1 iui=0
_ds_load_u16 v[vgprValuB_X1_I0+0], v[vgprLocalReadAddrB] offset:2048 // L -> Reg lro=1024 swapByteOffset=0 ti=32 vIdx=0 rIdx=0 oIdx=0 buffer=1 iui=0
_ds_load_u16_d16_hi v189, v[vgprLocalReadAddrB] offset:2304 // L -> Reg lro=1024 swapByteOffset=0 ti=32 vIdx=0 rIdx=1 oIdx=0 buffer=1 iui=0

/* global read inc A loopL */
s_add_u32 s[sgprSrdA+0], s[sgprSrdA+0], s[sgprGlobalReadIncsA+0] // gra SRD += inc(lower)
s_addc_u32  s[sgprSrdA+1], s[sgprSrdA+1], 0        // gra SRD += inc(upper)
s_sub_u32 s[sgprShadowLimitA+0], s[sgprShadowLimitA+0], s[sgprGlobalReadIncsA+0] // limit -= inc)
s_subb_u32 s[sgprShadowLimitA+1], s[sgprShadowLimitA+1], 0 // limit -= inc)
s_cmp_eq_u32 s[sgprShadowLimitA+1], 0              // are we within 2^32?
s_cmov_b32 s[sgprSrdA+2], s[sgprShadowLimitA+0]    // Move shadow to real if we are within 2^32

/* global read inc B loopL */
s_add_u32 s[sgprSrdB+0], s[sgprSrdB+0], s[sgprGlobalReadIncsB+0] // gra SRD += inc(lower)
/* pack scheduling: packAIdx:4, packBIdx:2 */
v_or_b32 v[vgprValuB_X0_I0+2], v[vgprValuB_X0_I0+2], v179 // pack two half Vgpr to one Vgpr
v_or_b32 v[vgprValuB_X0_I0+3], v[vgprValuB_X0_I0+3], v180 // pack two half Vgpr to one Vgpr
v_or_b32 v[vgprValuB_X0_I0+4], v[vgprValuB_X0_I0+4], v181 // pack two half Vgpr to one Vgpr
v_or_b32 v[vgprValuB_X0_I0+5], v[vgprValuB_X0_I0+5], v182 // pack two half Vgpr to one Vgpr
v_mfma_f32_32x32x8f16 v[16+0:31+0], v[vgprValuB_X0_I0+0+0+0:vgprValuB_X0_I0+0+0+0+1], v[vgprValuA_X0_I0+2+0+0:vgprValuA_X0_I0+2+0+0+1], v[16:31]
/*  mfmaIndex:2  */
_ds_load_u16 v[vgprValuB_X1_I0+1], v[vgprLocalReadAddrB] offset:2560 // L -> Reg lro=1024 swapByteOffset=0 ti=32 vIdx=0 rIdx=2 oIdx=0 buffer=1 iui=0
_ds_load_u16_d16_hi v190, v[vgprLocalReadAddrB] offset:2816 // L -> Reg lro=1024 swapByteOffset=0 ti=32 vIdx=0 rIdx=3 oIdx=0 buffer=1 iui=0
_ds_load_u16 v[vgprValuA_X1_I0+2], v[vgprLocalReadAddrA] offset:4352 // L -> Reg lro=2048 swapByteOffset=0 ti=128 vIdx=1 rIdx=0 oIdx=0 buffer=1 iui=0
_ds_load_u16_d16_hi v187, v[vgprLocalReadAddrA] offset:4864 // L -> Reg lro=2048 swapByteOffset=0 ti=128 vIdx=1 rIdx=1 oIdx=0 buffer=1 iui=0
_ds_load_u16 v[vgprValuA_X1_I0+3], v[vgprLocalReadAddrA] offset:5376 // L -> Reg lro=2048 swapByteOffset=0 ti=128 vIdx=1 rIdx=2 oIdx=0 buffer=1 iui=0
_ds_load_u16_d16_hi v188, v[vgprLocalReadAddrA] offset:5888 // L -> Reg lro=2048 swapByteOffset=0 ti=128 vIdx=1 rIdx=3 oIdx=0 buffer=1 iui=0
s_addc_u32  s[sgprSrdB+1], s[sgprSrdB+1], 0        // gra SRD += inc(upper)
s_sub_u32 s[sgprShadowLimitB+0], s[sgprShadowLimitB+0], s[sgprGlobalReadIncsB+0] // limit -= inc)
s_subb_u32 s[sgprShadowLimitB+1], s[sgprShadowLimitB+1], 0 // limit -= inc)
s_cmp_eq_u32 s[sgprShadowLimitB+1], 0              // are we within 2^32?
s_cmov_b32 s[sgprSrdB+2], s[sgprShadowLimitB+0]    // Move shadow to real if we are within 2^32
/* pack scheduling: packAIdx:4, packBIdx:4 */
v_or_b32 v[vgprValuB_X0_I0+6], v[vgprValuB_X0_I0+6], v183 // pack two half Vgpr to one Vgpr
v_or_b32 v[vgprValuB_X0_I0+7], v[vgprValuB_X0_I0+7], v184 // pack two half Vgpr to one Vgpr
v_mfma_f32_32x32x8f16 v[48+0:63+0], v[vgprValuB_X0_I0+2+0+0:vgprValuB_X0_I0+2+0+0+1], v[vgprValuA_X0_I0+2+0+0:vgprValuA_X0_I0+2+0+0+1], v[48:63]
/*  mfmaIndex:3  */
_ds_load_u16 v[vgprValuB_X1_I0+2], v[vgprLocalReadAddrB] offset:2112 // L -> Reg lro=1024 swapByteOffset=0 ti=32 vIdx=1 rIdx=0 oIdx=0 buffer=1 iui=0
_ds_load_u16_d16_hi v191, v[vgprLocalReadAddrB] offset:2368 // L -> Reg lro=1024 swapByteOffset=0 ti=32 vIdx=1 rIdx=1 oIdx=0 buffer=1 iui=0
_ds_load_u16 v[vgprValuB_X1_I0+3], v[vgprLocalReadAddrB] offset:2624 // L -> Reg lro=1024 swapByteOffset=0 ti=32 vIdx=1 rIdx=2 oIdx=0 buffer=1 iui=0
_ds_load_u16_d16_hi v192, v[vgprLocalReadAddrB] offset:2880 // L -> Reg lro=1024 swapByteOffset=0 ti=32 vIdx=1 rIdx=3 oIdx=0 buffer=1 iui=0
	;; [unrolled: 2-line block ×3, first 2 shown]
v_mfma_f32_32x32x8f16 v[32+0:47+0], v[vgprValuB_X0_I0+2+0+0:vgprValuB_X0_I0+2+0+0+1], v[vgprValuA_X0_I0+0+0+0:vgprValuA_X0_I0+0+0+0+1], v[32:47]
/*  mfmaIndex:4  */
_ds_load_u16 v[vgprValuB_X1_I0+5], v[vgprLocalReadAddrB] offset:2688 // L -> Reg lro=1024 swapByteOffset=0 ti=32 vIdx=2 rIdx=2 oIdx=0 buffer=1 iui=0
_ds_load_u16_d16_hi v194, v[vgprLocalReadAddrB] offset:2944 // L -> Reg lro=1024 swapByteOffset=0 ti=32 vIdx=2 rIdx=3 oIdx=0 buffer=1 iui=0
_ds_load_u16 v[vgprValuB_X1_I0+6], v[vgprLocalReadAddrB] offset:2240 // L -> Reg lro=1024 swapByteOffset=0 ti=32 vIdx=3 rIdx=0 oIdx=0 buffer=1 iui=0
s_setprio 3                                        // store optimization
/* sched write - iter 0 writesPerItem=1 */
s_waitcnt vmcnt(0)                                 // lgkmcnt=-1 vmcnt=0wait for global read before writing to local
_ds_store_b128 v[vgprLocalWriteAddrA], v[vgprG2LA+0:vgprG2LA+0+3] offset:0 // lwoA_0_0_0_0 = (0*LSCA) + (0*LSPA)(*MT0I+PAD) = 0
v_mfma_f32_32x32x8f16 v[64+0:79+0], v[vgprValuB_X0_I0+4+0+0:vgprValuB_X0_I0+4+0+0+1], v[vgprValuA_X0_I0+0+0+0:vgprValuA_X0_I0+0+0+0+1], v[64:79]
/*  mfmaIndex:5  */
_ds_load_u16_d16_hi v195, v[vgprLocalReadAddrB] offset:2496 // L -> Reg lro=1024 swapByteOffset=0 ti=32 vIdx=3 rIdx=1 oIdx=0 buffer=1 iui=0
_ds_load_u16 v[vgprValuB_X1_I0+7], v[vgprLocalReadAddrB] offset:2752 // L -> Reg lro=1024 swapByteOffset=0 ti=32 vIdx=3 rIdx=2 oIdx=0 buffer=1 iui=0
_ds_load_u16_d16_hi v196, v[vgprLocalReadAddrB] offset:3008 // L -> Reg lro=1024 swapByteOffset=0 ti=32 vIdx=3 rIdx=3 oIdx=0 buffer=1 iui=0
/* localReadsVacancy: latencyLeft 7 */
v_mfma_f32_32x32x8f16 v[80+0:95+0], v[vgprValuB_X0_I0+4+0+0:vgprValuB_X0_I0+4+0+0+1], v[vgprValuA_X0_I0+2+0+0:vgprValuA_X0_I0+2+0+0+1], v[80:95]
/*  mfmaIndex:6  */
/* localReadsVacancy: latencyLeft 3 */
/* sched write - iter 0 writesPerItem=1 */
s_waitcnt vmcnt(0)                                 // lgkmcnt=-1 vmcnt=0wait for global read before writing to local
_ds_store_b128 v[vgprLocalWriteAddrA], v[vgprG2LA+4:vgprG2LA+4+3] offset:4096 // lwoA_0_0_1_0 = (0*LSCA) + (1*LSPA)(*MT0I+PAD) = 4096
v_mfma_f32_32x32x8f16 v[112+0:127+0], v[vgprValuB_X0_I0+6+0+0:vgprValuB_X0_I0+6+0+0+1], v[vgprValuA_X0_I0+2+0+0:vgprValuA_X0_I0+2+0+0+1], v[112:127]
/*  mfmaIndex:7  */
/* localReadsVacancy: latencyLeft 13 */

/* local read swap offsets a */
v_xor_b32 v[vgprLocalReadAddrA], 0x4000, v[vgprLocalReadAddrA] // swap Red Blk

/* local read swap offsets b */
v_xor_b32 v[vgprLocalReadAddrB], 0x4000, v[vgprLocalReadAddrB] // swap Red Blk

/* local read init pointers a */

/* localReadInitPointers */

/* local read init pointers b */

/* localReadInitPointers */
v_mfma_f32_32x32x8f16 v[96+0:111+0], v[vgprValuB_X0_I0+6+0+0:vgprValuB_X0_I0+6+0+0+1], v[vgprValuA_X0_I0+0+0+0:vgprValuA_X0_I0+0+0+0+1], v[96:111]
/* numPrefetchIter=0 */
/* dataAtIterA=-1 numReadsIterA=1 skipReadsIterA=1 readsPerIterA=8 */
/* dataAtIterB=-1 numReadsIterB=1 skipReadsIterB=1 readsPerIterB=16 */


/* iter 1 (swap and reset local write pointers iteration)  */

/*  grEndMfmaIndex:2, lwStartMfmaIndex:4, lwEndMfmaIndex:10  */
/*  numMfmaForLR:4, barrierMfmaIndex:11, LocalWritePerMfma:0.370 */
/*  mfmaIndex:8  */
s_waitcnt lgkmcnt(1)                               // lgkmcnt=0 vmcnt=-1wait for prior local read local write old=0, new=1 newLW=1 newLR=0
/* pack scheduling: packAIdx:2, packBIdx:2 */
v_or_b32 v[vgprValuA_X1_I0+0], v[vgprValuA_X1_I0+0], v185 // pack two half Vgpr to one Vgpr
v_or_b32 v[vgprValuA_X1_I0+1], v[vgprValuA_X1_I0+1], v186 // pack two half Vgpr to one Vgpr
v_or_b32 v[vgprValuB_X1_I0+0], v[vgprValuB_X1_I0+0], v189 // pack two half Vgpr to one Vgpr
v_or_b32 v[vgprValuB_X1_I0+1], v[vgprValuB_X1_I0+1], v190 // pack two half Vgpr to one Vgpr
v_or_b32 v[vgprValuA_X1_I0+2], v[vgprValuA_X1_I0+2], v187 // pack two half Vgpr to one Vgpr
v_or_b32 v[vgprValuA_X1_I0+3], v[vgprValuA_X1_I0+3], v188 // pack two half Vgpr to one Vgpr
v_mfma_f32_32x32x8f16 v[0+0:15+0], v[vgprValuB_X1_I0+0+0+0:vgprValuB_X1_I0+0+0+0+1], v[vgprValuA_X1_I0+0+0+0:vgprValuA_X1_I0+0+0+0+1], v[0:15]
/*  mfmaIndex:9  */
/* sched write - iter 1 writesPerItem=1 */
s_waitcnt vmcnt(0)                                 // lgkmcnt=-1 vmcnt=0wait for global read before writing to local
_ds_store_b128 v[vgprLocalWriteAddrB], v[vgprG2LB+0:vgprG2LB+0+3] offset:0 // lwoB_0_0_0_0 = (0*LSCB) + (0*LSPB)(*MT1J+PAD) = 0
/* pack scheduling: packAIdx:4, packBIdx:2 */
v_or_b32 v[vgprValuB_X1_I0+2], v[vgprValuB_X1_I0+2], v191 // pack two half Vgpr to one Vgpr
v_or_b32 v[vgprValuB_X1_I0+3], v[vgprValuB_X1_I0+3], v192 // pack two half Vgpr to one Vgpr
	;; [unrolled: 1-line block ×4, first 2 shown]
v_mfma_f32_32x32x8f16 v[16+0:31+0], v[vgprValuB_X1_I0+0+0+0:vgprValuB_X1_I0+0+0+0+1], v[vgprValuA_X1_I0+2+0+0:vgprValuA_X1_I0+2+0+0+1], v[16:31]
/*  mfmaIndex:10  */

/* local write swap offsets a */

/* (EPS=1) local write swap internal offset -> 16384 */

/* local write swap offsets b */

/* (EPS=1) local write swap internal offset -> 16384 */
/* pack scheduling: packAIdx:4, packBIdx:4 */
v_or_b32 v[vgprValuB_X1_I0+6], v[vgprValuB_X1_I0+6], v195 // pack two half Vgpr to one Vgpr
v_or_b32 v[vgprValuB_X1_I0+7], v[vgprValuB_X1_I0+7], v196 // pack two half Vgpr to one Vgpr
v_mfma_f32_32x32x8f16 v[48+0:63+0], v[vgprValuB_X1_I0+2+0+0:vgprValuB_X1_I0+2+0+0+1], v[vgprValuA_X1_I0+2+0+0:vgprValuA_X1_I0+2+0+0+1], v[48:63]
s_setprio 0                                        // store optimization
/*  mfmaIndex:11  */
s_waitcnt lgkmcnt(0)                               // lgkmcnt=0 vmcnt=-13wait for local write
// Skip force waitcnt0
s_barrier //
v_mfma_f32_32x32x8f16 v[32+0:47+0], v[vgprValuB_X1_I0+2+0+0:vgprValuB_X1_I0+2+0+0+1], v[vgprValuA_X1_I0+0+0+0:vgprValuA_X1_I0+0+0+0+1], v[32:47]
/*  mfmaIndex:12  */
s_setprio 3                                        // store optimization
_ds_load_u16 v[vgprValuA_X0_I0+0], v[vgprLocalReadAddrA] offset:0 // L -> Reg lro=0 swapByteOffset=0 ti=128 vIdx=0 rIdx=0 oIdx=0 buffer=0 iui=0
_ds_load_u16_d16_hi v173, v[vgprLocalReadAddrA] offset:512 // L -> Reg lro=0 swapByteOffset=0 ti=128 vIdx=0 rIdx=1 oIdx=0 buffer=0 iui=0
_ds_load_u16 v[vgprValuA_X0_I0+1], v[vgprLocalReadAddrA] offset:1024 // L -> Reg lro=0 swapByteOffset=0 ti=128 vIdx=0 rIdx=2 oIdx=0 buffer=0 iui=0
_ds_load_u16_d16_hi v174, v[vgprLocalReadAddrA] offset:1536 // L -> Reg lro=0 swapByteOffset=0 ti=128 vIdx=0 rIdx=3 oIdx=0 buffer=0 iui=0
_ds_load_u16 v[vgprValuB_X0_I0+0], v[vgprLocalReadAddrB] offset:0 // L -> Reg lro=0 swapByteOffset=0 ti=32 vIdx=0 rIdx=0 oIdx=0 buffer=0 iui=0
_ds_load_u16_d16_hi v177, v[vgprLocalReadAddrB] offset:256 // L -> Reg lro=0 swapByteOffset=0 ti=32 vIdx=0 rIdx=1 oIdx=0 buffer=0 iui=0
v_mfma_f32_32x32x8f16 v[64+0:79+0], v[vgprValuB_X1_I0+4+0+0:vgprValuB_X1_I0+4+0+0+1], v[vgprValuA_X1_I0+0+0+0:vgprValuA_X1_I0+0+0+0+1], v[64:79]
/*  mfmaIndex:13  */
_ds_load_u16 v[vgprValuB_X0_I0+1], v[vgprLocalReadAddrB] offset:512 // L -> Reg lro=0 swapByteOffset=0 ti=32 vIdx=0 rIdx=2 oIdx=0 buffer=0 iui=0
_ds_load_u16_d16_hi v178, v[vgprLocalReadAddrB] offset:768 // L -> Reg lro=0 swapByteOffset=0 ti=32 vIdx=0 rIdx=3 oIdx=0 buffer=0 iui=0
_ds_load_u16 v[vgprValuA_X0_I0+2], v[vgprLocalReadAddrA] offset:256 // L -> Reg lro=0 swapByteOffset=0 ti=128 vIdx=1 rIdx=0 oIdx=0 buffer=0 iui=0
_ds_load_u16_d16_hi v175, v[vgprLocalReadAddrA] offset:768 // L -> Reg lro=0 swapByteOffset=0 ti=128 vIdx=1 rIdx=1 oIdx=0 buffer=0 iui=0
_ds_load_u16 v[vgprValuA_X0_I0+3], v[vgprLocalReadAddrA] offset:1280 // L -> Reg lro=0 swapByteOffset=0 ti=128 vIdx=1 rIdx=2 oIdx=0 buffer=0 iui=0
_ds_load_u16_d16_hi v176, v[vgprLocalReadAddrA] offset:1792 // L -> Reg lro=0 swapByteOffset=0 ti=128 vIdx=1 rIdx=3 oIdx=0 buffer=0 iui=0
v_mfma_f32_32x32x8f16 v[80+0:95+0], v[vgprValuB_X1_I0+4+0+0:vgprValuB_X1_I0+4+0+0+1], v[vgprValuA_X1_I0+2+0+0:vgprValuA_X1_I0+2+0+0+1], v[80:95]
/*  mfmaIndex:14  */
_ds_load_u16 v[vgprValuB_X0_I0+2], v[vgprLocalReadAddrB] offset:64 // L -> Reg lro=0 swapByteOffset=0 ti=32 vIdx=1 rIdx=0 oIdx=0 buffer=0 iui=0
_ds_load_u16_d16_hi v179, v[vgprLocalReadAddrB] offset:320 // L -> Reg lro=0 swapByteOffset=0 ti=32 vIdx=1 rIdx=1 oIdx=0 buffer=0 iui=0
_ds_load_u16 v[vgprValuB_X0_I0+3], v[vgprLocalReadAddrB] offset:576 // L -> Reg lro=0 swapByteOffset=0 ti=32 vIdx=1 rIdx=2 oIdx=0 buffer=0 iui=0
_ds_load_u16_d16_hi v180, v[vgprLocalReadAddrB] offset:832 // L -> Reg lro=0 swapByteOffset=0 ti=32 vIdx=1 rIdx=3 oIdx=0 buffer=0 iui=0
	;; [unrolled: 2-line block ×3, first 2 shown]
v_mfma_f32_32x32x8f16 v[112+0:127+0], v[vgprValuB_X1_I0+6+0+0:vgprValuB_X1_I0+6+0+0+1], v[vgprValuA_X1_I0+2+0+0:vgprValuA_X1_I0+2+0+0+1], v[112:127]
/*  mfmaIndex:15  */
_ds_load_u16 v[vgprValuB_X0_I0+5], v[vgprLocalReadAddrB] offset:640 // L -> Reg lro=0 swapByteOffset=0 ti=32 vIdx=2 rIdx=2 oIdx=0 buffer=0 iui=0
_ds_load_u16_d16_hi v182, v[vgprLocalReadAddrB] offset:896 // L -> Reg lro=0 swapByteOffset=0 ti=32 vIdx=2 rIdx=3 oIdx=0 buffer=0 iui=0
_ds_load_u16 v[vgprValuB_X0_I0+6], v[vgprLocalReadAddrB] offset:192 // L -> Reg lro=0 swapByteOffset=0 ti=32 vIdx=3 rIdx=0 oIdx=0 buffer=0 iui=0
_ds_load_u16_d16_hi v183, v[vgprLocalReadAddrB] offset:448 // L -> Reg lro=0 swapByteOffset=0 ti=32 vIdx=3 rIdx=1 oIdx=0 buffer=0 iui=0
	;; [unrolled: 2-line block ×3, first 2 shown]
v_mfma_f32_32x32x8f16 v[96+0:111+0], v[vgprValuB_X1_I0+6+0+0:vgprValuB_X1_I0+6+0+0+1], v[vgprValuA_X1_I0+0+0+0:vgprValuA_X1_I0+0+0+0+1], v[96:111]
s_setprio 0                                        // store optimization
/* numPrefetchIter=1 */
/* dataAtIterA=0 numReadsIterA=1 skipReadsIterA=1 readsPerIterA=8 */
/* dataAtIterB=0 numReadsIterB=1 skipReadsIterB=1 readsPerIterB=16 */

label_0014:


/******************************************/
/* Opt. NoLoadLoop Without PAP - Begin                                      */
/******************************************/

s_cmpk_eq_u32 s[sgprBeta], 0x0                     // Beta == 0
s_cbranch_scc0 OptNLL_End_17                       // Branch if Beta is not zero

s_cmp_eq_u32 s[sgprAlpha], 1.0                     // Alpha == 1.0 ?
s_cbranch_scc0 OptNLL_End_17                       // branch if alpha != 1

s_and_b32 s32, 255, s[sgprSizeI]                   // s32 = s[sgprSizeI] % 256
s_add_u32 s33, -0x1, s[sgprNumWorkGroups0]         // 
s_cmp_ge_u32 s[sgprWorkGroup0], s33                // wg0 >= nwg0-1 ?
s_cselect_b32 s32, s32, 0                          // set rMT0
s_cmpk_gt_u32 s32, 0x0                             // rMT0 > 0
s_cbranch_scc1 OptNLL_End_17                       // jump if edges required
s_and_b32 s32, 127, s[sgprSizeJ]                   // s32 = s[sgprSizeJ] % 128
s_add_u32 s33, -0x1, s[sgprNumWorkGroups1]         // 
s_cmp_ge_u32 s[sgprWorkGroup1], s33                // wg1 >= nwg1-1
s_cselect_b32 s32, s32, 0                          // set rMT1
s_cmpk_gt_u32 s32, 0x0                             // rMT1 > 0
s_cbranch_scc1 OptNLL_End_17                       // jump if edges required

s_and_b32 s33, 15, s[sgprSizesSum+0]               // s33 = s[sgprSizesSum+0] % 16
s_cmp_eq_u32 s33, 0x0                              // numIterL == 0
s_cbranch_scc0 OptNLL_End_17                       // skip if tail loop required


	;; [unrolled: 1-line block ×3, first 2 shown]
/* iter 0 (last unrolled loop) */

/*  grEndMfmaIndex:0, lwStartMfmaIndex:10, lwEndMfmaIndex:10  */
/*  numMfmaForLR:4, barrierMfmaIndex:11, LocalWritePerMfma:0.370 */
/*  mfmaIndex:0  */
s_waitcnt lgkmcnt(0)                               // lgkmcnt=0 vmcnt=-1wait for prior local read local write old=0, new=0 newLW=0 newLR=0
/* pack scheduling: packAIdx:2, packBIdx:2 */
v_or_b32 v[vgprValuA_X0_I0+0], v[vgprValuA_X0_I0+0], v173 // pack two half Vgpr to one Vgpr
v_or_b32 v[vgprValuA_X0_I0+1], v[vgprValuA_X0_I0+1], v174 // pack two half Vgpr to one Vgpr
v_or_b32 v[vgprValuB_X0_I0+0], v[vgprValuB_X0_I0+0], v177 // pack two half Vgpr to one Vgpr
v_or_b32 v[vgprValuB_X0_I0+1], v[vgprValuB_X0_I0+1], v178 // pack two half Vgpr to one Vgpr
v_or_b32 v[vgprValuA_X0_I0+2], v[vgprValuA_X0_I0+2], v175 // pack two half Vgpr to one Vgpr
v_or_b32 v[vgprValuA_X0_I0+3], v[vgprValuA_X0_I0+3], v176 // pack two half Vgpr to one Vgpr
v_mfma_f32_32x32x8f16 v[0+0:15+0], v[vgprValuB_X0_I0+0+0+0:vgprValuB_X0_I0+0+0+0+1], v[vgprValuA_X0_I0+0+0+0:vgprValuA_X0_I0+0+0+0+1], v[0:15]
/*  mfmaIndex:1  */
_ds_load_u16 v[vgprValuA_X1_I0+0], v[vgprLocalReadAddrA] offset:4096 // L -> Reg lro=2048 swapByteOffset=0 ti=128 vIdx=0 rIdx=0 oIdx=0 buffer=1 iui=0
_ds_load_u16_d16_hi v185, v[vgprLocalReadAddrA] offset:4608 // L -> Reg lro=2048 swapByteOffset=0 ti=128 vIdx=0 rIdx=1 oIdx=0 buffer=1 iui=0
_ds_load_u16 v[vgprValuA_X1_I0+1], v[vgprLocalReadAddrA] offset:5120 // L -> Reg lro=2048 swapByteOffset=0 ti=128 vIdx=0 rIdx=2 oIdx=0 buffer=1 iui=0
_ds_load_u16_d16_hi v186, v[vgprLocalReadAddrA] offset:5632 // L -> Reg lro=2048 swapByteOffset=0 ti=128 vIdx=0 rIdx=3 oIdx=0 buffer=1 iui=0
_ds_load_u16 v[vgprValuB_X1_I0+0], v[vgprLocalReadAddrB] offset:2048 // L -> Reg lro=1024 swapByteOffset=0 ti=32 vIdx=0 rIdx=0 oIdx=0 buffer=1 iui=0
_ds_load_u16_d16_hi v189, v[vgprLocalReadAddrB] offset:2304 // L -> Reg lro=1024 swapByteOffset=0 ti=32 vIdx=0 rIdx=1 oIdx=0 buffer=1 iui=0
/* pack scheduling: packAIdx:4, packBIdx:2 */
v_or_b32 v[vgprValuB_X0_I0+2], v[vgprValuB_X0_I0+2], v179 // pack two half Vgpr to one Vgpr
v_or_b32 v[vgprValuB_X0_I0+3], v[vgprValuB_X0_I0+3], v180 // pack two half Vgpr to one Vgpr
	;; [unrolled: 1-line block ×4, first 2 shown]
v_mfma_f32_32x32x8f16 v[16+0:31+0], v[vgprValuB_X0_I0+0+0+0:vgprValuB_X0_I0+0+0+0+1], v[vgprValuA_X0_I0+2+0+0:vgprValuA_X0_I0+2+0+0+1], v[16:31]
/*  mfmaIndex:2  */
_ds_load_u16 v[vgprValuB_X1_I0+1], v[vgprLocalReadAddrB] offset:2560 // L -> Reg lro=1024 swapByteOffset=0 ti=32 vIdx=0 rIdx=2 oIdx=0 buffer=1 iui=0
_ds_load_u16_d16_hi v190, v[vgprLocalReadAddrB] offset:2816 // L -> Reg lro=1024 swapByteOffset=0 ti=32 vIdx=0 rIdx=3 oIdx=0 buffer=1 iui=0
_ds_load_u16 v[vgprValuA_X1_I0+2], v[vgprLocalReadAddrA] offset:4352 // L -> Reg lro=2048 swapByteOffset=0 ti=128 vIdx=1 rIdx=0 oIdx=0 buffer=1 iui=0
_ds_load_u16_d16_hi v187, v[vgprLocalReadAddrA] offset:4864 // L -> Reg lro=2048 swapByteOffset=0 ti=128 vIdx=1 rIdx=1 oIdx=0 buffer=1 iui=0
_ds_load_u16 v[vgprValuA_X1_I0+3], v[vgprLocalReadAddrA] offset:5376 // L -> Reg lro=2048 swapByteOffset=0 ti=128 vIdx=1 rIdx=2 oIdx=0 buffer=1 iui=0
_ds_load_u16_d16_hi v188, v[vgprLocalReadAddrA] offset:5888 // L -> Reg lro=2048 swapByteOffset=0 ti=128 vIdx=1 rIdx=3 oIdx=0 buffer=1 iui=0
/* pack scheduling: packAIdx:4, packBIdx:4 */
v_or_b32 v[vgprValuB_X0_I0+6], v[vgprValuB_X0_I0+6], v183 // pack two half Vgpr to one Vgpr
v_or_b32 v[vgprValuB_X0_I0+7], v[vgprValuB_X0_I0+7], v184 // pack two half Vgpr to one Vgpr
v_mfma_f32_32x32x8f16 v[48+0:63+0], v[vgprValuB_X0_I0+2+0+0:vgprValuB_X0_I0+2+0+0+1], v[vgprValuA_X0_I0+2+0+0:vgprValuA_X0_I0+2+0+0+1], v[48:63]
/*  mfmaIndex:3  */
_ds_load_u16 v[vgprValuB_X1_I0+2], v[vgprLocalReadAddrB] offset:2112 // L -> Reg lro=1024 swapByteOffset=0 ti=32 vIdx=1 rIdx=0 oIdx=0 buffer=1 iui=0
_ds_load_u16_d16_hi v191, v[vgprLocalReadAddrB] offset:2368 // L -> Reg lro=1024 swapByteOffset=0 ti=32 vIdx=1 rIdx=1 oIdx=0 buffer=1 iui=0
_ds_load_u16 v[vgprValuB_X1_I0+3], v[vgprLocalReadAddrB] offset:2624 // L -> Reg lro=1024 swapByteOffset=0 ti=32 vIdx=1 rIdx=2 oIdx=0 buffer=1 iui=0
_ds_load_u16_d16_hi v192, v[vgprLocalReadAddrB] offset:2880 // L -> Reg lro=1024 swapByteOffset=0 ti=32 vIdx=1 rIdx=3 oIdx=0 buffer=1 iui=0
	;; [unrolled: 2-line block ×3, first 2 shown]
v_mfma_f32_32x32x8f16 v[32+0:47+0], v[vgprValuB_X0_I0+2+0+0:vgprValuB_X0_I0+2+0+0+1], v[vgprValuA_X0_I0+0+0+0:vgprValuA_X0_I0+0+0+0+1], v[32:47]
/*  mfmaIndex:4  */
_ds_load_u16 v[vgprValuB_X1_I0+5], v[vgprLocalReadAddrB] offset:2688 // L -> Reg lro=1024 swapByteOffset=0 ti=32 vIdx=2 rIdx=2 oIdx=0 buffer=1 iui=0
_ds_load_u16_d16_hi v194, v[vgprLocalReadAddrB] offset:2944 // L -> Reg lro=1024 swapByteOffset=0 ti=32 vIdx=2 rIdx=3 oIdx=0 buffer=1 iui=0
_ds_load_u16 v[vgprValuB_X1_I0+6], v[vgprLocalReadAddrB] offset:2240 // L -> Reg lro=1024 swapByteOffset=0 ti=32 vIdx=3 rIdx=0 oIdx=0 buffer=1 iui=0
_ds_load_u16_d16_hi v195, v[vgprLocalReadAddrB] offset:2496 // L -> Reg lro=1024 swapByteOffset=0 ti=32 vIdx=3 rIdx=1 oIdx=0 buffer=1 iui=0
	;; [unrolled: 2-line block ×3, first 2 shown]
/* localReadsVacancy: latencyLeft 1 */
v_mfma_f32_32x32x8f16 v[64+0:79+0], v[vgprValuB_X0_I0+4+0+0:vgprValuB_X0_I0+4+0+0+1], v[vgprValuA_X0_I0+0+0+0:vgprValuA_X0_I0+0+0+0+1], v[64:79]
/*  mfmaIndex:5  */
/* localReadsVacancy: latencyLeft 13 */
v_mfma_f32_32x32x8f16 v[80+0:95+0], v[vgprValuB_X0_I0+4+0+0:vgprValuB_X0_I0+4+0+0+1], v[vgprValuA_X0_I0+2+0+0:vgprValuA_X0_I0+2+0+0+1], v[80:95]
/*  mfmaIndex:6  */
	;; [unrolled: 3-line block ×3, first 2 shown]
/* localReadsVacancy: latencyLeft 13 */
v_mfma_f32_32x32x8f16 v[96+0:111+0], v[vgprValuB_X0_I0+6+0+0:vgprValuB_X0_I0+6+0+0+1], v[vgprValuA_X0_I0+0+0+0:vgprValuA_X0_I0+0+0+0+1], v[96:111]
/* numPrefetchIter=0 */
/* dataAtIterA=-1 numReadsIterA=1 skipReadsIterA=1 readsPerIterA=8 */
/* dataAtIterB=-1 numReadsIterB=1 skipReadsIterB=1 readsPerIterB=16 */


/* iter 1 (last unrolled loop) */

/*  grEndMfmaIndex:0, lwStartMfmaIndex:10, lwEndMfmaIndex:10  */
/*  numMfmaForLR:4, barrierMfmaIndex:11, LocalWritePerMfma:0.370 */
/*  mfmaIndex:8  */
s_waitcnt lgkmcnt(0)                               // lgkmcnt=0 vmcnt=-1wait for prior local read local write old=0, new=0 newLW=0 newLR=0
/* pack scheduling: packAIdx:2, packBIdx:2 */
v_or_b32 v[vgprValuA_X1_I0+0], v[vgprValuA_X1_I0+0], v185 // pack two half Vgpr to one Vgpr
v_or_b32 v[vgprValuA_X1_I0+1], v[vgprValuA_X1_I0+1], v186 // pack two half Vgpr to one Vgpr
v_or_b32 v[vgprValuB_X1_I0+0], v[vgprValuB_X1_I0+0], v189 // pack two half Vgpr to one Vgpr
v_or_b32 v[vgprValuB_X1_I0+1], v[vgprValuB_X1_I0+1], v190 // pack two half Vgpr to one Vgpr
v_or_b32 v[vgprValuA_X1_I0+2], v[vgprValuA_X1_I0+2], v187 // pack two half Vgpr to one Vgpr
v_or_b32 v[vgprValuA_X1_I0+3], v[vgprValuA_X1_I0+3], v188 // pack two half Vgpr to one Vgpr
v_mfma_f32_32x32x8f16 v[0+0:15+0], v[vgprValuB_X1_I0+0+0+0:vgprValuB_X1_I0+0+0+0+1], v[vgprValuA_X1_I0+0+0+0:vgprValuA_X1_I0+0+0+0+1], v[0:15]
/*  mfmaIndex:9  */
/* pack scheduling: packAIdx:4, packBIdx:2 */
v_or_b32 v[vgprValuB_X1_I0+2], v[vgprValuB_X1_I0+2], v191 // pack two half Vgpr to one Vgpr
v_or_b32 v[vgprValuB_X1_I0+3], v[vgprValuB_X1_I0+3], v192 // pack two half Vgpr to one Vgpr
	;; [unrolled: 1-line block ×4, first 2 shown]
v_mfma_f32_32x32x8f16 v[16+0:31+0], v[vgprValuB_X1_I0+0+0+0:vgprValuB_X1_I0+0+0+0+1], v[vgprValuA_X1_I0+2+0+0:vgprValuA_X1_I0+2+0+0+1], v[16:31]
/*  mfmaIndex:10  */
s_setprio 3                                        // store optimization
/* pack scheduling: packAIdx:4, packBIdx:4 */
v_or_b32 v[vgprValuB_X1_I0+6], v[vgprValuB_X1_I0+6], v195 // pack two half Vgpr to one Vgpr
v_or_b32 v[vgprValuB_X1_I0+7], v[vgprValuB_X1_I0+7], v196 // pack two half Vgpr to one Vgpr
v_mfma_f32_32x32x8f16 v[48+0:63+0], v[vgprValuB_X1_I0+2+0+0:vgprValuB_X1_I0+2+0+0+1], v[vgprValuA_X1_I0+2+0+0:vgprValuA_X1_I0+2+0+0+1], v[48:63]
s_setprio 0                                        // store optimization
/*  mfmaIndex:11  */
v_mfma_f32_32x32x8f16 v[32+0:47+0], v[vgprValuB_X1_I0+2+0+0:vgprValuB_X1_I0+2+0+0+1], v[vgprValuA_X1_I0+0+0+0:vgprValuA_X1_I0+0+0+0+1], v[32:47]
/*  mfmaIndex:12  */
s_setprio 3                                        // store optimization
v_mfma_f32_32x32x8f16 v[64+0:79+0], v[vgprValuB_X1_I0+4+0+0:vgprValuB_X1_I0+4+0+0+1], v[vgprValuA_X1_I0+0+0+0:vgprValuA_X1_I0+0+0+0+1], v[64:79]
/*  mfmaIndex:13  */
v_mfma_f32_32x32x8f16 v[80+0:95+0], v[vgprValuB_X1_I0+4+0+0:vgprValuB_X1_I0+4+0+0+1], v[vgprValuA_X1_I0+2+0+0:vgprValuA_X1_I0+2+0+0+1], v[80:95]
/*  mfmaIndex:14  */
	;; [unrolled: 2-line block ×3, first 2 shown]
v_mfma_f32_32x32x8f16 v[96+0:111+0], v[vgprValuB_X1_I0+6+0+0:vgprValuB_X1_I0+6+0+0+1], v[vgprValuA_X1_I0+0+0+0:vgprValuA_X1_I0+0+0+0+1], v[96:111]
/* numPrefetchIter=0 */
/* dataAtIterA=0 numReadsIterA=1 skipReadsIterA=0 readsPerIterA=8 */
/* dataAtIterB=0 numReadsIterB=1 skipReadsIterB=0 readsPerIterB=16 */

/* Stores for OptNLL */
Summation_End_OptNLL_18:
s_setprio 0                                        // optimization store
/* endSummation: add vgpr [128...170) to pool */
.set NumFullBlocks, UNDEF
.set WgmRemainder1, UNDEF
.set MagicNumberWgmRemainder1, UNDEF

/* Mapping of Acc register -> C Vgpr register */

/* Multiply MI out register with Alpha -> C Vgpr register */
/* computeStoreVgprs */
v_lshrrev_b32 v132, 6, v[vgprSerial]               // v132 = v[vgprSerial] / 64
v_and_b32 v129, 63, v[vgprSerial]                  // v129 = v[vgprSerial] % 64
v_lshrrev_b32 v129, 5, v129                        // v129 = v129 / 32
v_lshlrev_b32 v129, 0x2, v129                      // thread0 * continuous_output
v_lshrrev_b32 v133, 2, v132                        // v133 = v132 / 4
v_mul_lo_u32 v133, 0x20, v133                      // wave coordination offset 1
_v_add_lshl_u32 v129, v133, v129, 0                // coordination 1 = vwb *(wave_id1 + tid1)
v_mul_lo_u32 v130, v129, s[sgprStrideC1J]          //  offset 1
v_mul_lo_u32 v131, v129, s[sgprStrideD1J]          //  offset 1
v_and_b32 v133, 3, v132                            // v133 = v132 % 4
v_mul_lo_u32 v133, 0x20, v133                      // wave coordination offset 0
v_and_b32 v128, 31, v[vgprSerial]                  // v128 = v[vgprSerial] % 32
_v_add_lshl_u32 v128, v133, v128, 0                // coordination 0 = vwa *(wave_id0 + tid0)
s_mul_i32 s31, 256, s[sgprWorkGroup0]              // wgp0 * MT0
_v_add_u32 v128, s31, v128                         // coord 0 = (tid0/MI_m)*4 + waveG0*MIB_m + MT0*SG0
s_mul_i32 s31, 128, s[sgprWorkGroup1]              // wgp1 * MT1
_v_add_u32 v129, s31, v129                         // coord 1 = (tid0%MI_m) + waveG1*MIB_n + MT1*SG1
GW_B0_E0_21:

/* edge=0, allocate 2 sgpr. perBatchTmpS=2 perBatchMaskS=0 perElementMaskS=0 elementsPerBatch=116 */
/* optSingleColVgpr=1 optSharedColVgpr=0 optSGPRUsage=BufferLoad_Mask optSrdIncForRow=1 */
s_sleep 1 // optimization: sync and wait
s_barrier

/******************************************/
/* Global Write Batch #0 (d1,d0,vc1,vc0) = */
/*    (0,0,0,0:vw1); (0,1,0,0:vw1); (0,0,1,0:vw1); (0,1,1,0:vw1); (0,0,2,0:vw1); (0,1,2,0:vw1); (0,0,3,0:vw1); (0,1,3,0:vw1); (1,0,0,0:vw1); (1,1,0,0:vw1); (1,0,1,0:vw1); (1,1,1,0:vw1); (1,0,2,0:vw1); (1,1,2,0:vw1); (1,0,3,0:vw1); (1,1,3,0:vw1); (2,0,0,0:vw1); (2,1,0,0:vw1); (2,0,1,0:vw1); (2,1,1,0:vw1); (2,0,2,0:vw1); (2,1,2,0:vw1); (2,0,3,0:vw1); (2,1,3,0:vw1); (3,0,0,0:vw1); (3,1,0,0:vw1); (3,0,1,0:vw1); (3,1,1,0:vw1); (3,0,2,0:vw1); (3,1,2,0:vw1); (3,0,3,0:vw1); (3,1,3,0:vw1); (4,0,0,0:vw1); (4,1,0,0:vw1); (4,0,1,0:vw1); (4,1,1,0:vw1); (4,0,2,0:vw1); (4,1,2,0:vw1); (4,0,3,0:vw1); (4,1,3,0:vw1); (5,0,0,0:vw1); (5,1,0,0:vw1); (5,0,1,0:vw1); (5,1,1,0:vw1); (5,0,2,0:vw1); (5,1,2,0:vw1); (5,0,3,0:vw1); (5,1,3,0:vw1); (6,0,0,0:vw1); (6,1,0,0:vw1); (6,0,1,0:vw1); (6,1,1,0:vw1); (6,0,2,0:vw1); (6,1,2,0:vw1); (6,0,3,0:vw1); (6,1,3,0:vw1); (7,0,0,0:vw1); (7,1,0,0:vw1); (7,0,1,0:vw1); (7,1,1,0:vw1); (7,0,2,0:vw1); (7,1,2,0:vw1); (7,0,3,0:vw1); (7,1,3,0:vw1); (8,0,0,0:vw1); (8,1,0,0:vw1); (8,0,1,0:vw1); (8,1,1,0:vw1); (8,0,2,0:vw1); (8,1,2,0:vw1); (8,0,3,0:vw1); (8,1,3,0:vw1); (9,0,0,0:vw1); (9,1,0,0:vw1); (9,0,1,0:vw1); (9,1,1,0:vw1); (9,0,2,0:vw1); (9,1,2,0:vw1); (9,0,3,0:vw1); (9,1,3,0:vw1); (10,0,0,0:vw1); (10,1,0,0:vw1); (10,0,1,0:vw1); (10,1,1,0:vw1); (10,0,2,0:vw1); (10,1,2,0:vw1); (10,0,3,0:vw1); (10,1,3,0:vw1); (11,0,0,0:vw1); (11,1,0,0:vw1); (11,0,1,0:vw1); (11,1,1,0:vw1); (11,0,2,0:vw1); (11,1,2,0:vw1); (11,0,3,0:vw1); (11,1,3,0:vw1); (12,0,0,0:vw1); (12,1,0,0:vw1); (12,0,1,0:vw1); (12,1,1,0:vw1); (12,0,2,0:vw1); (12,1,2,0:vw1); (12,0,3,0:vw1); (12,1,3,0:vw1); (13,0,0,0:vw1); (13,1,0,0:vw1); (13,0,1,0:vw1); (13,1,1,0:vw1); (13,0,2,0:vw1); (13,1,2,0:vw1); (13,0,3,0:vw1); (13,1,3,0:vw1); (14,0,0,0:vw1); (14,1,0,0:vw1); (14,0,1,0:vw1); (14,1,1,0:vw1) */
/******************************************/

/* calc coords, apply mask, and issue loads (if necessary) */
/* (d1,vc1,d0,vc0)=(0,0,0,0) */
/* (d1,vc1,d0,vc0)=(0,0,1,0) */
	;; [unrolled: 1-line block ×116, first 2 shown]
_v_add_lshl_u32 v134, v131, v128, 0x2              // optSingleColVgpr scaleToBpe: sharedAddrVgpr <- cinRowPtr + coord0, scaled by BPE. BSHERE:coord0=128, coord0Vgpr=128
v_mov_b32 v[vgprValuC+136], v[vgprValuC+0] // copy MI out reg to vreg[0]
v_mov_b32 v[vgprValuC+137], v[vgprValuC+16] // copy MI out reg to vreg[1]
	;; [unrolled: 1-line block ×116, first 2 shown]

/* apply mask, calc new C and issue writes */
_buffer_store_b32 v136, v134, s[sgprSrdD:sgprSrdD+3], 0, offen, offset:0,  glc slc // store D
_buffer_store_b32 v137, v134, s[sgprSrdD:sgprSrdD+3], 0, offen, offset:512,  glc slc // store D
s_lshl_b32  s32, s[sgprStrideD1J], 2               // incToNextRow: Scale by BPE
s_add_u32  s[sgprSrdD+0], s[sgprSrdD+0], s32       // incToNextRow: gra SRD += inc(lower)
s_addc_u32  s[sgprSrdD+1], s[sgprSrdD+1], 0        // incToNextRow: gra SRD += inc(upper)
_buffer_store_b32 v138, v134, s[sgprSrdD:sgprSrdD+3], 0, offen, offset:0,  glc slc // store D
_buffer_store_b32 v139, v134, s[sgprSrdD:sgprSrdD+3], 0, offen, offset:512,  glc slc // store D
s_lshl_b32  s32, s[sgprStrideD1J], 2               // incToNextRow: Scale by BPE
s_add_u32  s[sgprSrdD+0], s[sgprSrdD+0], s32       // incToNextRow: gra SRD += inc(lower)
s_addc_u32  s[sgprSrdD+1], s[sgprSrdD+1], 0        // incToNextRow: gra SRD += inc(upper)
_buffer_store_b32 v140, v134, s[sgprSrdD:sgprSrdD+3], 0, offen, offset:0,  glc slc // store D
_buffer_store_b32 v141, v134, s[sgprSrdD:sgprSrdD+3], 0, offen, offset:512,  glc slc // store D
s_lshl_b32  s32, s[sgprStrideD1J], 2               // incToNextRow: Scale by BPE
s_add_u32  s[sgprSrdD+0], s[sgprSrdD+0], s32       // incToNextRow: gra SRD += inc(lower)
s_addc_u32  s[sgprSrdD+1], s[sgprSrdD+1], 0        // incToNextRow: gra SRD += inc(upper)
_buffer_store_b32 v142, v134, s[sgprSrdD:sgprSrdD+3], 0, offen, offset:0,  glc slc // store D
_buffer_store_b32 v143, v134, s[sgprSrdD:sgprSrdD+3], 0, offen, offset:512,  glc slc // store D
s_mul_i32 s32, s[sgprStrideD1J], 20                // scale StrideD *= numRows(5) * bpe
s_add_u32  s[sgprSrdD+0], s[sgprSrdD+0], s32       // incToNextRow: gra SRD += inc(lower)
s_addc_u32  s[sgprSrdD+1], s[sgprSrdD+1], 0        // incToNextRow: gra SRD += inc(upper)
_buffer_store_b32 v144, v134, s[sgprSrdD:sgprSrdD+3], 0, offen, offset:0,  glc slc // store D
_buffer_store_b32 v145, v134, s[sgprSrdD:sgprSrdD+3], 0, offen, offset:512,  glc slc // store D
s_lshl_b32  s32, s[sgprStrideD1J], 2               // incToNextRow: Scale by BPE
s_add_u32  s[sgprSrdD+0], s[sgprSrdD+0], s32       // incToNextRow: gra SRD += inc(lower)
s_addc_u32  s[sgprSrdD+1], s[sgprSrdD+1], 0        // incToNextRow: gra SRD += inc(upper)
_buffer_store_b32 v146, v134, s[sgprSrdD:sgprSrdD+3], 0, offen, offset:0,  glc slc // store D
_buffer_store_b32 v147, v134, s[sgprSrdD:sgprSrdD+3], 0, offen, offset:512,  glc slc // store D
s_lshl_b32  s32, s[sgprStrideD1J], 2               // incToNextRow: Scale by BPE
s_add_u32  s[sgprSrdD+0], s[sgprSrdD+0], s32       // incToNextRow: gra SRD += inc(lower)
s_addc_u32  s[sgprSrdD+1], s[sgprSrdD+1], 0        // incToNextRow: gra SRD += inc(upper)
_buffer_store_b32 v148, v134, s[sgprSrdD:sgprSrdD+3], 0, offen, offset:0,  glc slc // store D
_buffer_store_b32 v149, v134, s[sgprSrdD:sgprSrdD+3], 0, offen, offset:512,  glc slc // store D
s_lshl_b32  s32, s[sgprStrideD1J], 2               // incToNextRow: Scale by BPE
s_add_u32  s[sgprSrdD+0], s[sgprSrdD+0], s32       // incToNextRow: gra SRD += inc(lower)
s_addc_u32  s[sgprSrdD+1], s[sgprSrdD+1], 0        // incToNextRow: gra SRD += inc(upper)
_buffer_store_b32 v150, v134, s[sgprSrdD:sgprSrdD+3], 0, offen, offset:0,  glc slc // store D
_buffer_store_b32 v151, v134, s[sgprSrdD:sgprSrdD+3], 0, offen, offset:512,  glc slc // store D
s_mul_i32 s32, s[sgprStrideD1J], 20                // scale StrideD *= numRows(5) * bpe
s_add_u32  s[sgprSrdD+0], s[sgprSrdD+0], s32       // incToNextRow: gra SRD += inc(lower)
s_addc_u32  s[sgprSrdD+1], s[sgprSrdD+1], 0        // incToNextRow: gra SRD += inc(upper)
	;; [unrolled: 20-line block ×14, first 2 shown]
_buffer_store_b32 v251, v134, s[sgprSrdD:sgprSrdD+3], 0, offen, offset:0,  glc slc // store D
_buffer_store_b32 v252, v134, s[sgprSrdD:sgprSrdD+3], 0, offen, offset:512,  glc slc // store D
s_lshl_b32  s32, s[sgprStrideD1J], 2               // incToNextRow: Scale by BPE
s_add_u32  s[sgprSrdD+0], s[sgprSrdD+0], s32       // incToNextRow: gra SRD += inc(lower)
s_addc_u32  s[sgprSrdD+1], s[sgprSrdD+1], 0        // incToNextRow: gra SRD += inc(upper)
_buffer_store_b32 v253, v134, s[sgprSrdD:sgprSrdD+3], 0, offen, offset:0,  glc slc // store D
_buffer_store_b32 v254, v134, s[sgprSrdD:sgprSrdD+3], 0, offen, offset:512,  glc slc // store D
s_nop 0                                            // 1 wait state required when next inst writes vgprs held by previous dwordx4 store inst
/* optSingleColVgpr=1 optSharedColVgpr=0 optSGPRUsage=BufferLoad_Mask optSrdIncForRow=1 */
s_sleep 1 // optimization: sync and wait
s_barrier

/******************************************/
/* Global Write Batch #1 (d1,d0,vc1,vc0) = */
/*    (14,0,2,0:vw1); (14,1,2,0:vw1); (14,0,3,0:vw1); (14,1,3,0:vw1); (15,0,0,0:vw1); (15,1,0,0:vw1); (15,0,1,0:vw1); (15,1,1,0:vw1); (15,0,2,0:vw1); (15,1,2,0:vw1); (15,0,3,0:vw1); (15,1,3,0:vw1) */
/******************************************/

/* calc coords, apply mask, and issue loads (if necessary) */
/* (d1,vc1,d0,vc0)=(14,2,0,0) */
/* (d1,vc1,d0,vc0)=(14,2,1,0) */
	;; [unrolled: 1-line block ×12, first 2 shown]
v_mov_b32 v[vgprValuC+136], v[vgprValuC+106] // copy MI out reg to vreg[116]
v_mov_b32 v[vgprValuC+137], v[vgprValuC+122] // copy MI out reg to vreg[117]
	;; [unrolled: 1-line block ×12, first 2 shown]

/* apply mask, calc new C and issue writes */
s_lshl_b32  s32, s[sgprStrideD1J], 2               // incToNextRow: Scale by BPE
s_add_u32  s[sgprSrdD+0], s[sgprSrdD+0], s32       // incToNextRow: gra SRD += inc(lower)
s_addc_u32  s[sgprSrdD+1], s[sgprSrdD+1], 0        // incToNextRow: gra SRD += inc(upper)
_buffer_store_b32 v136, v134, s[sgprSrdD:sgprSrdD+3], 0, offen, offset:0,  glc slc // store D
_buffer_store_b32 v137, v134, s[sgprSrdD:sgprSrdD+3], 0, offen, offset:512,  glc slc // store D
s_lshl_b32  s32, s[sgprStrideD1J], 2               // incToNextRow: Scale by BPE
s_add_u32  s[sgprSrdD+0], s[sgprSrdD+0], s32       // incToNextRow: gra SRD += inc(lower)
s_addc_u32  s[sgprSrdD+1], s[sgprSrdD+1], 0        // incToNextRow: gra SRD += inc(upper)
_buffer_store_b32 v138, v134, s[sgprSrdD:sgprSrdD+3], 0, offen, offset:0,  glc slc // store D
_buffer_store_b32 v139, v134, s[sgprSrdD:sgprSrdD+3], 0, offen, offset:512,  glc slc // store D
s_mul_i32 s32, s[sgprStrideD1J], 20                // scale StrideD *= numRows(5) * bpe
s_add_u32  s[sgprSrdD+0], s[sgprSrdD+0], s32       // incToNextRow: gra SRD += inc(lower)
s_addc_u32  s[sgprSrdD+1], s[sgprSrdD+1], 0        // incToNextRow: gra SRD += inc(upper)
_buffer_store_b32 v140, v134, s[sgprSrdD:sgprSrdD+3], 0, offen, offset:0,  glc slc // store D
_buffer_store_b32 v141, v134, s[sgprSrdD:sgprSrdD+3], 0, offen, offset:512,  glc slc // store D
s_lshl_b32  s32, s[sgprStrideD1J], 2               // incToNextRow: Scale by BPE
s_add_u32  s[sgprSrdD+0], s[sgprSrdD+0], s32       // incToNextRow: gra SRD += inc(lower)
s_addc_u32  s[sgprSrdD+1], s[sgprSrdD+1], 0        // incToNextRow: gra SRD += inc(upper)
_buffer_store_b32 v142, v134, s[sgprSrdD:sgprSrdD+3], 0, offen, offset:0,  glc slc // store D
_buffer_store_b32 v143, v134, s[sgprSrdD:sgprSrdD+3], 0, offen, offset:512,  glc slc // store D
s_lshl_b32  s32, s[sgprStrideD1J], 2               // incToNextRow: Scale by BPE
s_add_u32  s[sgprSrdD+0], s[sgprSrdD+0], s32       // incToNextRow: gra SRD += inc(lower)
s_addc_u32  s[sgprSrdD+1], s[sgprSrdD+1], 0        // incToNextRow: gra SRD += inc(upper)
_buffer_store_b32 v144, v134, s[sgprSrdD:sgprSrdD+3], 0, offen, offset:0,  glc slc // store D
_buffer_store_b32 v145, v134, s[sgprSrdD:sgprSrdD+3], 0, offen, offset:512,  glc slc // store D
s_lshl_b32  s32, s[sgprStrideD1J], 2               // incToNextRow: Scale by BPE
s_add_u32  s[sgprSrdD+0], s[sgprSrdD+0], s32       // incToNextRow: gra SRD += inc(lower)
s_addc_u32  s[sgprSrdD+1], s[sgprSrdD+1], 0        // incToNextRow: gra SRD += inc(upper)
_buffer_store_b32 v146, v134, s[sgprSrdD:sgprSrdD+3], 0, offen, offset:0,  glc slc // store D
_buffer_store_b32 v147, v134, s[sgprSrdD:sgprSrdD+3], 0, offen, offset:512,  glc slc // store D
s_nop 0                                            // 1 wait state required when next inst writes vgprs held by previous dwordx4 store inst
s_branch label_GW_End_23                           // jump to end
label_GW_End_23:

s_endpgm                                           // Kernel End
OptNLL_End_17:


/******************************************/
/* Ord. NoLoadLoop - Begin                                      */
/******************************************/


	;; [unrolled: 1-line block ×4, first 2 shown]
/* iter 0 (last unrolled loop) */

/*  grEndMfmaIndex:0, lwStartMfmaIndex:10, lwEndMfmaIndex:10  */
/*  numMfmaForLR:4, barrierMfmaIndex:11, LocalWritePerMfma:0.370 */
/*  mfmaIndex:0  */
s_waitcnt lgkmcnt(0)                               // lgkmcnt=0 vmcnt=-1wait for prior local read local write old=0, new=0 newLW=0 newLR=0
/* pack scheduling: packAIdx:2, packBIdx:2 */
v_or_b32 v[vgprValuA_X0_I0+0], v[vgprValuA_X0_I0+0], v173 // pack two half Vgpr to one Vgpr
v_or_b32 v[vgprValuA_X0_I0+1], v[vgprValuA_X0_I0+1], v174 // pack two half Vgpr to one Vgpr
v_or_b32 v[vgprValuB_X0_I0+0], v[vgprValuB_X0_I0+0], v177 // pack two half Vgpr to one Vgpr
v_or_b32 v[vgprValuB_X0_I0+1], v[vgprValuB_X0_I0+1], v178 // pack two half Vgpr to one Vgpr
v_or_b32 v[vgprValuA_X0_I0+2], v[vgprValuA_X0_I0+2], v175 // pack two half Vgpr to one Vgpr
v_or_b32 v[vgprValuA_X0_I0+3], v[vgprValuA_X0_I0+3], v176 // pack two half Vgpr to one Vgpr
v_mfma_f32_32x32x8f16 v[0+0:15+0], v[vgprValuB_X0_I0+0+0+0:vgprValuB_X0_I0+0+0+0+1], v[vgprValuA_X0_I0+0+0+0:vgprValuA_X0_I0+0+0+0+1], v[0:15]
/*  mfmaIndex:1  */
_ds_load_u16 v[vgprValuA_X1_I0+0], v[vgprLocalReadAddrA] offset:4096 // L -> Reg lro=2048 swapByteOffset=0 ti=128 vIdx=0 rIdx=0 oIdx=0 buffer=1 iui=0
_ds_load_u16_d16_hi v185, v[vgprLocalReadAddrA] offset:4608 // L -> Reg lro=2048 swapByteOffset=0 ti=128 vIdx=0 rIdx=1 oIdx=0 buffer=1 iui=0
_ds_load_u16 v[vgprValuA_X1_I0+1], v[vgprLocalReadAddrA] offset:5120 // L -> Reg lro=2048 swapByteOffset=0 ti=128 vIdx=0 rIdx=2 oIdx=0 buffer=1 iui=0
_ds_load_u16_d16_hi v186, v[vgprLocalReadAddrA] offset:5632 // L -> Reg lro=2048 swapByteOffset=0 ti=128 vIdx=0 rIdx=3 oIdx=0 buffer=1 iui=0
_ds_load_u16 v[vgprValuB_X1_I0+0], v[vgprLocalReadAddrB] offset:2048 // L -> Reg lro=1024 swapByteOffset=0 ti=32 vIdx=0 rIdx=0 oIdx=0 buffer=1 iui=0
_ds_load_u16_d16_hi v189, v[vgprLocalReadAddrB] offset:2304 // L -> Reg lro=1024 swapByteOffset=0 ti=32 vIdx=0 rIdx=1 oIdx=0 buffer=1 iui=0
/* pack scheduling: packAIdx:4, packBIdx:2 */
v_or_b32 v[vgprValuB_X0_I0+2], v[vgprValuB_X0_I0+2], v179 // pack two half Vgpr to one Vgpr
v_or_b32 v[vgprValuB_X0_I0+3], v[vgprValuB_X0_I0+3], v180 // pack two half Vgpr to one Vgpr
	;; [unrolled: 1-line block ×4, first 2 shown]
v_mfma_f32_32x32x8f16 v[16+0:31+0], v[vgprValuB_X0_I0+0+0+0:vgprValuB_X0_I0+0+0+0+1], v[vgprValuA_X0_I0+2+0+0:vgprValuA_X0_I0+2+0+0+1], v[16:31]
/*  mfmaIndex:2  */
_ds_load_u16 v[vgprValuB_X1_I0+1], v[vgprLocalReadAddrB] offset:2560 // L -> Reg lro=1024 swapByteOffset=0 ti=32 vIdx=0 rIdx=2 oIdx=0 buffer=1 iui=0
_ds_load_u16_d16_hi v190, v[vgprLocalReadAddrB] offset:2816 // L -> Reg lro=1024 swapByteOffset=0 ti=32 vIdx=0 rIdx=3 oIdx=0 buffer=1 iui=0
_ds_load_u16 v[vgprValuA_X1_I0+2], v[vgprLocalReadAddrA] offset:4352 // L -> Reg lro=2048 swapByteOffset=0 ti=128 vIdx=1 rIdx=0 oIdx=0 buffer=1 iui=0
_ds_load_u16_d16_hi v187, v[vgprLocalReadAddrA] offset:4864 // L -> Reg lro=2048 swapByteOffset=0 ti=128 vIdx=1 rIdx=1 oIdx=0 buffer=1 iui=0
_ds_load_u16 v[vgprValuA_X1_I0+3], v[vgprLocalReadAddrA] offset:5376 // L -> Reg lro=2048 swapByteOffset=0 ti=128 vIdx=1 rIdx=2 oIdx=0 buffer=1 iui=0
_ds_load_u16_d16_hi v188, v[vgprLocalReadAddrA] offset:5888 // L -> Reg lro=2048 swapByteOffset=0 ti=128 vIdx=1 rIdx=3 oIdx=0 buffer=1 iui=0
/* pack scheduling: packAIdx:4, packBIdx:4 */
v_or_b32 v[vgprValuB_X0_I0+6], v[vgprValuB_X0_I0+6], v183 // pack two half Vgpr to one Vgpr
v_or_b32 v[vgprValuB_X0_I0+7], v[vgprValuB_X0_I0+7], v184 // pack two half Vgpr to one Vgpr
v_mfma_f32_32x32x8f16 v[48+0:63+0], v[vgprValuB_X0_I0+2+0+0:vgprValuB_X0_I0+2+0+0+1], v[vgprValuA_X0_I0+2+0+0:vgprValuA_X0_I0+2+0+0+1], v[48:63]
/*  mfmaIndex:3  */
_ds_load_u16 v[vgprValuB_X1_I0+2], v[vgprLocalReadAddrB] offset:2112 // L -> Reg lro=1024 swapByteOffset=0 ti=32 vIdx=1 rIdx=0 oIdx=0 buffer=1 iui=0
_ds_load_u16_d16_hi v191, v[vgprLocalReadAddrB] offset:2368 // L -> Reg lro=1024 swapByteOffset=0 ti=32 vIdx=1 rIdx=1 oIdx=0 buffer=1 iui=0
_ds_load_u16 v[vgprValuB_X1_I0+3], v[vgprLocalReadAddrB] offset:2624 // L -> Reg lro=1024 swapByteOffset=0 ti=32 vIdx=1 rIdx=2 oIdx=0 buffer=1 iui=0
_ds_load_u16_d16_hi v192, v[vgprLocalReadAddrB] offset:2880 // L -> Reg lro=1024 swapByteOffset=0 ti=32 vIdx=1 rIdx=3 oIdx=0 buffer=1 iui=0
	;; [unrolled: 2-line block ×3, first 2 shown]
v_mfma_f32_32x32x8f16 v[32+0:47+0], v[vgprValuB_X0_I0+2+0+0:vgprValuB_X0_I0+2+0+0+1], v[vgprValuA_X0_I0+0+0+0:vgprValuA_X0_I0+0+0+0+1], v[32:47]
/*  mfmaIndex:4  */
_ds_load_u16 v[vgprValuB_X1_I0+5], v[vgprLocalReadAddrB] offset:2688 // L -> Reg lro=1024 swapByteOffset=0 ti=32 vIdx=2 rIdx=2 oIdx=0 buffer=1 iui=0
_ds_load_u16_d16_hi v194, v[vgprLocalReadAddrB] offset:2944 // L -> Reg lro=1024 swapByteOffset=0 ti=32 vIdx=2 rIdx=3 oIdx=0 buffer=1 iui=0
_ds_load_u16 v[vgprValuB_X1_I0+6], v[vgprLocalReadAddrB] offset:2240 // L -> Reg lro=1024 swapByteOffset=0 ti=32 vIdx=3 rIdx=0 oIdx=0 buffer=1 iui=0
_ds_load_u16_d16_hi v195, v[vgprLocalReadAddrB] offset:2496 // L -> Reg lro=1024 swapByteOffset=0 ti=32 vIdx=3 rIdx=1 oIdx=0 buffer=1 iui=0
_ds_load_u16 v[vgprValuB_X1_I0+7], v[vgprLocalReadAddrB] offset:2752 // L -> Reg lro=1024 swapByteOffset=0 ti=32 vIdx=3 rIdx=2 oIdx=0 buffer=1 iui=0
_ds_load_u16_d16_hi v196, v[vgprLocalReadAddrB] offset:3008 // L -> Reg lro=1024 swapByteOffset=0 ti=32 vIdx=3 rIdx=3 oIdx=0 buffer=1 iui=0
/* localReadsVacancy: latencyLeft 1 */
v_mfma_f32_32x32x8f16 v[64+0:79+0], v[vgprValuB_X0_I0+4+0+0:vgprValuB_X0_I0+4+0+0+1], v[vgprValuA_X0_I0+0+0+0:vgprValuA_X0_I0+0+0+0+1], v[64:79]
/*  mfmaIndex:5  */
/* localReadsVacancy: latencyLeft 13 */
v_mfma_f32_32x32x8f16 v[80+0:95+0], v[vgprValuB_X0_I0+4+0+0:vgprValuB_X0_I0+4+0+0+1], v[vgprValuA_X0_I0+2+0+0:vgprValuA_X0_I0+2+0+0+1], v[80:95]
/*  mfmaIndex:6  */
	;; [unrolled: 3-line block ×3, first 2 shown]
/* localReadsVacancy: latencyLeft 13 */
v_mfma_f32_32x32x8f16 v[96+0:111+0], v[vgprValuB_X0_I0+6+0+0:vgprValuB_X0_I0+6+0+0+1], v[vgprValuA_X0_I0+0+0+0:vgprValuA_X0_I0+0+0+0+1], v[96:111]
/* numPrefetchIter=0 */
/* dataAtIterA=-1 numReadsIterA=1 skipReadsIterA=1 readsPerIterA=8 */
/* dataAtIterB=-1 numReadsIterB=1 skipReadsIterB=1 readsPerIterB=16 */


/* iter 1 (last unrolled loop) */

/*  grEndMfmaIndex:0, lwStartMfmaIndex:10, lwEndMfmaIndex:10  */
/*  numMfmaForLR:4, barrierMfmaIndex:11, LocalWritePerMfma:0.370 */
/*  mfmaIndex:8  */
s_waitcnt lgkmcnt(0)                               // lgkmcnt=0 vmcnt=-1wait for prior local read local write old=0, new=0 newLW=0 newLR=0
/* pack scheduling: packAIdx:2, packBIdx:2 */
v_or_b32 v[vgprValuA_X1_I0+0], v[vgprValuA_X1_I0+0], v185 // pack two half Vgpr to one Vgpr
v_or_b32 v[vgprValuA_X1_I0+1], v[vgprValuA_X1_I0+1], v186 // pack two half Vgpr to one Vgpr
v_or_b32 v[vgprValuB_X1_I0+0], v[vgprValuB_X1_I0+0], v189 // pack two half Vgpr to one Vgpr
v_or_b32 v[vgprValuB_X1_I0+1], v[vgprValuB_X1_I0+1], v190 // pack two half Vgpr to one Vgpr
v_or_b32 v[vgprValuA_X1_I0+2], v[vgprValuA_X1_I0+2], v187 // pack two half Vgpr to one Vgpr
v_or_b32 v[vgprValuA_X1_I0+3], v[vgprValuA_X1_I0+3], v188 // pack two half Vgpr to one Vgpr
v_mfma_f32_32x32x8f16 v[0+0:15+0], v[vgprValuB_X1_I0+0+0+0:vgprValuB_X1_I0+0+0+0+1], v[vgprValuA_X1_I0+0+0+0:vgprValuA_X1_I0+0+0+0+1], v[0:15]
/*  mfmaIndex:9  */
/* pack scheduling: packAIdx:4, packBIdx:2 */
v_or_b32 v[vgprValuB_X1_I0+2], v[vgprValuB_X1_I0+2], v191 // pack two half Vgpr to one Vgpr
v_or_b32 v[vgprValuB_X1_I0+3], v[vgprValuB_X1_I0+3], v192 // pack two half Vgpr to one Vgpr
	;; [unrolled: 1-line block ×4, first 2 shown]
v_mfma_f32_32x32x8f16 v[16+0:31+0], v[vgprValuB_X1_I0+0+0+0:vgprValuB_X1_I0+0+0+0+1], v[vgprValuA_X1_I0+2+0+0:vgprValuA_X1_I0+2+0+0+1], v[16:31]
/*  mfmaIndex:10  */
s_setprio 3                                        // store optimization
/* pack scheduling: packAIdx:4, packBIdx:4 */
v_or_b32 v[vgprValuB_X1_I0+6], v[vgprValuB_X1_I0+6], v195 // pack two half Vgpr to one Vgpr
v_or_b32 v[vgprValuB_X1_I0+7], v[vgprValuB_X1_I0+7], v196 // pack two half Vgpr to one Vgpr
v_mfma_f32_32x32x8f16 v[48+0:63+0], v[vgprValuB_X1_I0+2+0+0:vgprValuB_X1_I0+2+0+0+1], v[vgprValuA_X1_I0+2+0+0:vgprValuA_X1_I0+2+0+0+1], v[48:63]
s_setprio 0                                        // store optimization
/*  mfmaIndex:11  */
v_mfma_f32_32x32x8f16 v[32+0:47+0], v[vgprValuB_X1_I0+2+0+0:vgprValuB_X1_I0+2+0+0+1], v[vgprValuA_X1_I0+0+0+0:vgprValuA_X1_I0+0+0+0+1], v[32:47]
/*  mfmaIndex:12  */
s_setprio 3                                        // store optimization
v_mfma_f32_32x32x8f16 v[64+0:79+0], v[vgprValuB_X1_I0+4+0+0:vgprValuB_X1_I0+4+0+0+1], v[vgprValuA_X1_I0+0+0+0:vgprValuA_X1_I0+0+0+0+1], v[64:79]
/*  mfmaIndex:13  */
v_mfma_f32_32x32x8f16 v[80+0:95+0], v[vgprValuB_X1_I0+4+0+0:vgprValuB_X1_I0+4+0+0+1], v[vgprValuA_X1_I0+2+0+0:vgprValuA_X1_I0+2+0+0+1], v[80:95]
/*  mfmaIndex:14  */
	;; [unrolled: 2-line block ×3, first 2 shown]
v_mfma_f32_32x32x8f16 v[96+0:111+0], v[vgprValuB_X1_I0+6+0+0:vgprValuB_X1_I0+6+0+0+1], v[vgprValuA_X1_I0+0+0+0:vgprValuA_X1_I0+0+0+0+1], v[96:111]
/* numPrefetchIter=0 */
/* dataAtIterA=0 numReadsIterA=1 skipReadsIterA=0 readsPerIterA=8 */
/* dataAtIterB=0 numReadsIterB=1 skipReadsIterB=0 readsPerIterB=16 */

PrefetchGlobalLastIterEnd_5:


/******************************************/
/* Tail Loop                              */
/******************************************/


/* local write reset offsets a */


v_and_b32 v[vgprLocalWriteAddrA], 0xf03fff, v[vgprLocalWriteAddrA] // reset to Red


/* local write reset offsets b */


v_and_b32 v[vgprLocalWriteAddrB], 0xf03fff, v[vgprLocalWriteAddrB] // reset to Red


//numIterL = (((sizeL % LOCAL_DEPTHU) + LOCAL_SPLITU - 1) / LOCAL_SPLITU)
s_and_b32 s[sgprLoopCounterL], 15, s[sgprSizesSum+0] // s[sgprLoopCounterL] = s[sgprSizesSum+0] % 16
s_cmp_eq_u32 s[sgprLoopCounterL], 0x0              // numIterL == 0
s_cbranch_scc1 SkipTailLoopL_8                     // skip to end of tail loop b/c numIter==0
s_mov_b32 s[sgprOrigLoopCounter], 0                // repurpose to count each localRead increment


/* Update M0 for DTLDS */


	;; [unrolled: 1-line block ×3, first 2 shown]
/* global read a */

/* g2l=0, load component 0 */
_buffer_load_d16_b16 v[vgprG2LA+0+0], v[vgprGlobalReadOffsetA+0], s[sgprSrdA:sgprSrdA+3], 0, offen offset:0 // load one buffer value
/* g2l=0, load component 1 */
_buffer_load_d16_hi_b16 v173, v[vgprGlobalReadOffsetA+0], s[sgprSrdA:sgprSrdA+3], 0, offen offset:2 // load one buffer value
s_waitcnt vmcnt(0)
v_or_b32 v[vgprG2LA+0+0], v[vgprG2LA+0+0], v173 // HasEccHalf: pack
/* g2l=0, load component 2 */
_buffer_load_d16_b16 v[vgprG2LA+0+1], v[vgprGlobalReadOffsetA+0], s[sgprSrdA:sgprSrdA+3], 0, offen offset:4 // load one buffer value
/* g2l=0, load component 3 */
_buffer_load_d16_hi_b16 v173, v[vgprGlobalReadOffsetA+0], s[sgprSrdA:sgprSrdA+3], 0, offen offset:6 // load one buffer value
s_waitcnt vmcnt(0)
v_or_b32 v[vgprG2LA+0+1], v[vgprG2LA+0+1], v173 // HasEccHalf: pack
	;; [unrolled: 6-line block ×8, first 2 shown]


/* Update M0 for DTLDS */


	;; [unrolled: 1-line block ×3, first 2 shown]
/* global read b */

/* g2l=0, load component 0 */
_buffer_load_d16_b16 v[vgprG2LB+0+0], v[vgprGlobalReadOffsetB+0], s[sgprSrdB:sgprSrdB+3], 0, offen offset:0 // load one buffer value
/* g2l=0, load component 1 */
_buffer_load_d16_hi_b16 v173, v[vgprGlobalReadOffsetB+0], s[sgprSrdB:sgprSrdB+3], 0, offen offset:2 // load one buffer value
s_waitcnt vmcnt(0)
v_or_b32 v[vgprG2LB+0+0], v[vgprG2LB+0+0], v173 // HasEccHalf: pack
/* g2l=0, load component 2 */
_buffer_load_d16_b16 v[vgprG2LB+0+1], v[vgprGlobalReadOffsetB+0], s[sgprSrdB:sgprSrdB+3], 0, offen offset:4 // load one buffer value
/* g2l=0, load component 3 */
_buffer_load_d16_hi_b16 v173, v[vgprGlobalReadOffsetB+0], s[sgprSrdB:sgprSrdB+3], 0, offen offset:6 // load one buffer value
s_waitcnt vmcnt(0)
v_or_b32 v[vgprG2LB+0+1], v[vgprG2LB+0+1], v173 // HasEccHalf: pack
	;; [unrolled: 6-line block ×4, first 2 shown]

s_waitcnt vmcnt(0)                                 // lgkmcnt=-1 vmcnt=02wait for global read

// Skip force waitcnt0
s_barrier //


/* Done global A/B reads */


	;; [unrolled: 1-line block ×4, first 2 shown]
/* local write a */

_ds_store_b128 v[vgprLocalWriteAddrA], v[vgprG2LA+0:vgprG2LA+0+3] offset:0 // lwoA_0_0_0_0 = (0*LSCA) + (0*LSPA)(*MT0I+PAD) = 0
_ds_store_b128 v[vgprLocalWriteAddrA], v[vgprG2LA+4:vgprG2LA+4+3] offset:4096 // lwoA_0_0_1_0 = (0*LSCA) + (1*LSPA)(*MT0I+PAD) = 4096


/* local write b */

_ds_store_b128 v[vgprLocalWriteAddrB], v[vgprG2LB+0:vgprG2LB+0+3] offset:0 // lwoB_0_0_0_0 = (0*LSCB) + (0*LSPB)(*MT1J+PAD) = 0


/* Recalc local read offsets */


s_waitcnt lgkmcnt(0)                               // lgkmcnt=0 vmcnt=-15wait for local write

// Skip force waitcnt0
s_barrier //


/* local read reset offsets a */


/* localReadResetOffsets */
/* handled internally */
v_and_b32 v[vgprLocalReadAddrA], 0x3fff, v[vgprLocalReadAddrA] // reset Red,Blk -> Red


/* local read reset offsets b */


/* localReadResetOffsets */
/* handled internally */
v_and_b32 v[vgprLocalReadAddrB], 0x3fff, v[vgprLocalReadAddrB] // reset Red,Blk -> Red


/* local read init pointers a */


/* localReadInitPointers */


/* local read init pointers b */


/* localReadInitPointers */


/* tail loop: macs */

TailLoopBeginL_6:


/* local read a */

_ds_load_u16 v[vgprValuA_X0_I0+0], v[vgprLocalReadAddrA] offset:0 // L -> Reg lro=0 swapByteOffset=0 ti=128 vIdx=0 rIdx=0 oIdx=0 buffer=0 iui=0
_ds_load_u16_d16_hi v173, v[vgprLocalReadAddrA] offset:512 // L -> Reg lro=0 swapByteOffset=0 ti=128 vIdx=0 rIdx=1 oIdx=0 buffer=0 iui=0
_ds_load_u16 v[vgprValuA_X0_I0+1], v[vgprLocalReadAddrA] offset:1024 // L -> Reg lro=0 swapByteOffset=0 ti=128 vIdx=0 rIdx=2 oIdx=0 buffer=0 iui=0
_ds_load_u16_d16_hi v174, v[vgprLocalReadAddrA] offset:1536 // L -> Reg lro=0 swapByteOffset=0 ti=128 vIdx=0 rIdx=3 oIdx=0 buffer=0 iui=0
	;; [unrolled: 2-line block ×4, first 2 shown]


/* local read b */

_ds_load_u16 v[vgprValuB_X0_I0+0], v[vgprLocalReadAddrB] offset:0 // L -> Reg lro=0 swapByteOffset=0 ti=32 vIdx=0 rIdx=0 oIdx=0 buffer=0 iui=0
_ds_load_u16_d16_hi v177, v[vgprLocalReadAddrB] offset:256 // L -> Reg lro=0 swapByteOffset=0 ti=32 vIdx=0 rIdx=1 oIdx=0 buffer=0 iui=0
_ds_load_u16 v[vgprValuB_X0_I0+1], v[vgprLocalReadAddrB] offset:512 // L -> Reg lro=0 swapByteOffset=0 ti=32 vIdx=0 rIdx=2 oIdx=0 buffer=0 iui=0
_ds_load_u16_d16_hi v178, v[vgprLocalReadAddrB] offset:768 // L -> Reg lro=0 swapByteOffset=0 ti=32 vIdx=0 rIdx=3 oIdx=0 buffer=0 iui=0
	;; [unrolled: 2-line block ×8, first 2 shown]


/* local read inc a */

s_mov_b32 s31, 0x1000                              // inc
_v_add_co_u32 v[vgprLocalReadAddrA], vcc, s31, v[vgprLocalReadAddrA] // lrA += 4096 (LSU*(MT+PAD)*bpe)


/* local read inc b */

s_mov_b32 s31, 0x800                               // inc
_v_add_co_u32 v[vgprLocalReadAddrB], vcc, s31, v[vgprLocalReadAddrB] // lrB += 2048 (LSU*(MT+PAD)*bpe)

s_waitcnt lgkmcnt(0)                               // lgkmcnt=0 vmcnt=-14wait for local read

v_or_b32 v[vgprValuA_X0_I0+0], v[vgprValuA_X0_I0+0], v173 // pack two half Vgpr to one Vgpr
v_or_b32 v[vgprValuA_X0_I0+1], v[vgprValuA_X0_I0+1], v174 // pack two half Vgpr to one Vgpr
	;; [unrolled: 1-line block ×4, first 2 shown]
v_or_b32 v[vgprValuB_X0_I0+0], v[vgprValuB_X0_I0+0], v177 // pack two half Vgpr to one Vgpr
v_or_b32 v[vgprValuB_X0_I0+1], v[vgprValuB_X0_I0+1], v178 // pack two half Vgpr to one Vgpr
	;; [unrolled: 1-line block ×8, first 2 shown]

s_nop 1
v_mfma_f32_32x32x8f16 v[0+0:15+0], v[vgprValuB_X0_I0+0+0+0:vgprValuB_X0_I0+0+0+0+1], v[vgprValuA_X0_I0+0+0+0:vgprValuA_X0_I0+0+0+0+1], v[0:15]
v_mfma_f32_32x32x8f16 v[16+0:31+0], v[vgprValuB_X0_I0+0+0+0:vgprValuB_X0_I0+0+0+0+1], v[vgprValuA_X0_I0+2+0+0:vgprValuA_X0_I0+2+0+0+1], v[16:31]
	;; [unrolled: 1-line block ×8, first 2 shown]


/* closeLoop loopL finalLoop=1 tailLoop=1 */
s_sub_i32 s[sgprLoopCounterL], s[sgprLoopCounterL], 0x8 // dec counterL (tailLoop)
s_add_u32 s[sgprOrigLoopCounter], s[sgprOrigLoopCounter], 0x8 // inc counterL
s_cmp_le_i32 s[sgprLoopCounterL], 0x0              // counterL<=0
s_cbranch_scc0 TailLoopBeginL_6                    // restart LoopL
TailLoopEndL_7:

SkipTailLoopL_8:

Summation_End_30:
s_setprio 0                                        // optimization store
/* endSummation: add vgpr [128...170) to pool */
.set NumFullBlocks, UNDEF
.set WgmRemainder1, UNDEF
.set MagicNumberWgmRemainder1, UNDEF

/* Mapping of Acc register -> C Vgpr register */

/* Multiply MI out register with Alpha -> C Vgpr register */


/* shift vector components d0 */

v_mov_b32 v129, s[sgprWorkGroup0]                  // 
v_mul_i32_i24 v129, -0x100, v129                   // wg*MT
_v_add_co_u32 v129, vcc, s[sgprSizesFree+0], v129  // wgMT = Size - wg*MT
v_mov_b32 v130, 0x100                              // MT
v_min_u32 v129, v130, v129                         // wgMT = (wgMT < MT) ? wgMT : MT
v_lshrrev_b32 v128, 6, v[vgprSerial]               // v128 = v[vgprSerial] / 64
v_and_b32 v131, 3, v128                            // v131 = v128 % 4
v_lshrrev_b32 v128, 5, v129                        // v128 = v129 / 32
v_and_b32 v132, 3, v128                            // v132 = v128 % 4
v_cmp_eq_u32 s[32:33], v132, v131                  // wave_id == block_belong_to_wave?
v_cndmask_b32 v129, v130, v129, s[32:33]           // wgMT = (wgMT < MT) ? wgMT : MT

/* mbReg: which mb block need to shift, mb(matrixInstCoal(32) * VectorWidth(1)) */
v_lshrrev_b32 v130, 5, v129                        // v130 = v129 / 32
v_lshlrev_b32 v132, 0x0, v131                      // v132 = v131 * 1
_v_sub_u32 v130, v130, v132                        // 

/* gbReg: glvw block id */
v_lshrrev_b32 v132, 3, v129                        // v132 = v129 / 8

/* tgbReg: glvw block id */
v_lshrrev_b32 v128, 0, v[vgprSerial]               // v128 = v[vgprSerial] / 1
v_and_b32 v133, 31, v128                           // v133 = v128 % 32
                                                   // v133 = v133 * 1 (multiplier is 1, do nothing)
v_lshrrev_b32 v133, 3, v133                        // v133 = v133 / 8
v_lshlrev_b32 v131, 0x2, v131                      // v131 = v131 * 4
_v_add_co_u32 v133, vcc, v131, v133                // tgbReg = (tid_coal * continOut) / GLVW
_v_sub_u32 v132, v132, v133                        // 

/* vwReg: glvw in which vw block? */
v_and_b32 v131, 0, v129                            // permute register between threads
v_lshrrev_b32 v131, 3, v131                        // permute register between threads

/* rReg : reminder of M_size % GlobalLoadVectorWidth */
v_and_b32 v133, 7, v129                            // v133 = v129 % 8
v_cmp_eq_u32 vcc, v133, 0x1                        // wgMT%VW == 1
s_cbranch_vccnz label_0031                         // branch to shift d0 r=1
v_cmp_eq_u32 vcc, v133, 0x2                        // wgMT%VW == 2
s_cbranch_vccnz label_0036                         // branch to shift d0 r=2
v_cmp_eq_u32 vcc, v133, 0x3                        // wgMT%VW == 3
s_cbranch_vccnz label_0041                         // branch to shift d0 r=3
v_cmp_eq_u32 vcc, v133, 0x4                        // wgMT%VW == 4
s_cbranch_vccnz label_0046                         // branch to shift d0 r=4
v_cmp_eq_u32 vcc, v133, 0x5                        // wgMT%VW == 5
s_cbranch_vccnz label_0051                         // branch to shift d0 r=5
v_cmp_eq_u32 vcc, v133, 0x6                        // wgMT%VW == 6
s_cbranch_vccnz label_0056                         // branch to shift d0 r=6
v_cmp_eq_u32 vcc, v133, 0x7                        // wgMT%VW == 7
s_cbranch_vccnz label_0061                         // branch to shift d0 r=7
s_branch label_0066                                // no shifting

/******************************************/
/* shift d0 r=1                           */
/******************************************/
label_0031:
v_cmp_eq_u32 vcc, v130, 0x0                        // 
s_cbranch_vccnz label_0032                         // branch to shift d0 r1 mb0
v_cmp_eq_u32 vcc, v130, 0x4                        // 
s_cbranch_vccnz label_0034                         // branch to shift d0 r1 mb1

/******************************************/
/* shift d0 r=2                           */
/******************************************/
label_0036:
v_cmp_eq_u32 vcc, v130, 0x0                        // 
s_cbranch_vccnz label_0037                         // branch to shift d0 r2 mb0
v_cmp_eq_u32 vcc, v130, 0x4                        // 
s_cbranch_vccnz label_0039                         // branch to shift d0 r2 mb1

/******************************************/
/* shift d0 r=3                           */
/******************************************/
label_0041:
v_cmp_eq_u32 vcc, v130, 0x0                        // 
s_cbranch_vccnz label_0042                         // branch to shift d0 r3 mb0
v_cmp_eq_u32 vcc, v130, 0x4                        // 
s_cbranch_vccnz label_0044                         // branch to shift d0 r3 mb1

/******************************************/
/* shift d0 r=4                           */
/******************************************/
label_0046:
v_cmp_eq_u32 vcc, v130, 0x0                        // 
s_cbranch_vccnz label_0047                         // branch to shift d0 r4 mb0
v_cmp_eq_u32 vcc, v130, 0x4                        // 
s_cbranch_vccnz label_0049                         // branch to shift d0 r4 mb1

/******************************************/
/* shift d0 r=5                           */
/******************************************/
label_0051:
v_cmp_eq_u32 vcc, v130, 0x0                        // 
s_cbranch_vccnz label_0052                         // branch to shift d0 r5 mb0
v_cmp_eq_u32 vcc, v130, 0x4                        // 
s_cbranch_vccnz label_0054                         // branch to shift d0 r5 mb1

/******************************************/
/* shift d0 r=6                           */
/******************************************/
label_0056:
v_cmp_eq_u32 vcc, v130, 0x0                        // 
s_cbranch_vccnz label_0057                         // branch to shift d0 r6 mb0
v_cmp_eq_u32 vcc, v130, 0x4                        // 
s_cbranch_vccnz label_0059                         // branch to shift d0 r6 mb1

/******************************************/
/* shift d0 r=7                           */
/******************************************/
label_0061:
v_cmp_eq_u32 vcc, v130, 0x0                        // 
s_cbranch_vccnz label_0062                         // branch to shift d0 r7 mb0
v_cmp_eq_u32 vcc, v130, 0x4                        // 
s_cbranch_vccnz label_0064                         // branch to shift d0 r7 mb1

/******************************************/
/* shift d0 r=1 mb=0                      */
/******************************************/
label_0032: // r1 mb0 
v_cmp_eq_u32 vcc, v131, 0x0                        // 
s_cbranch_vccnz label_0033                         // branch to shift d0 r1 mb0 vw0

/******************************************/
/* shift d0 r=1 mb=1                      */
/******************************************/
label_0034: // r1 mb1 
v_cmp_eq_u32 vcc, v131, 0x0                        // 
s_cbranch_vccnz label_0035                         // branch to shift d0 r1 mb1 vw0

/******************************************/
/* shift d0 r=2 mb=0                      */
/******************************************/
label_0037: // r2 mb0 
v_cmp_eq_u32 vcc, v131, 0x0                        // 
s_cbranch_vccnz label_0038                         // branch to shift d0 r2 mb0 vw0

/******************************************/
/* shift d0 r=2 mb=1                      */
/******************************************/
label_0039: // r2 mb1 
v_cmp_eq_u32 vcc, v131, 0x0                        // 
s_cbranch_vccnz label_0040                         // branch to shift d0 r2 mb1 vw0

/******************************************/
/* shift d0 r=3 mb=0                      */
/******************************************/
label_0042: // r3 mb0 
v_cmp_eq_u32 vcc, v131, 0x0                        // 
s_cbranch_vccnz label_0043                         // branch to shift d0 r3 mb0 vw0

/******************************************/
/* shift d0 r=3 mb=1                      */
/******************************************/
label_0044: // r3 mb1 
v_cmp_eq_u32 vcc, v131, 0x0                        // 
s_cbranch_vccnz label_0045                         // branch to shift d0 r3 mb1 vw0

/******************************************/
/* shift d0 r=4 mb=0                      */
/******************************************/
label_0047: // r4 mb0 
v_cmp_eq_u32 vcc, v131, 0x0                        // 
s_cbranch_vccnz label_0048                         // branch to shift d0 r4 mb0 vw0

/******************************************/
/* shift d0 r=4 mb=1                      */
/******************************************/
label_0049: // r4 mb1 
v_cmp_eq_u32 vcc, v131, 0x0                        // 
s_cbranch_vccnz label_0050                         // branch to shift d0 r4 mb1 vw0

/******************************************/
/* shift d0 r=5 mb=0                      */
/******************************************/
label_0052: // r5 mb0 
v_cmp_eq_u32 vcc, v131, 0x0                        // 
s_cbranch_vccnz label_0053                         // branch to shift d0 r5 mb0 vw0

/******************************************/
/* shift d0 r=5 mb=1                      */
/******************************************/
label_0054: // r5 mb1 
v_cmp_eq_u32 vcc, v131, 0x0                        // 
s_cbranch_vccnz label_0055                         // branch to shift d0 r5 mb1 vw0

/******************************************/
/* shift d0 r=6 mb=0                      */
/******************************************/
label_0057: // r6 mb0 
v_cmp_eq_u32 vcc, v131, 0x0                        // 
s_cbranch_vccnz label_0058                         // branch to shift d0 r6 mb0 vw0

/******************************************/
/* shift d0 r=6 mb=1                      */
/******************************************/
label_0059: // r6 mb1 
v_cmp_eq_u32 vcc, v131, 0x0                        // 
s_cbranch_vccnz label_0060                         // branch to shift d0 r6 mb1 vw0

/******************************************/
/* shift d0 r=7 mb=0                      */
/******************************************/
label_0062: // r7 mb0 
v_cmp_eq_u32 vcc, v131, 0x0                        // 
s_cbranch_vccnz label_0063                         // branch to shift d0 r7 mb0 vw0

/******************************************/
/* shift d0 r=7 mb=1                      */
/******************************************/
label_0064: // r7 mb1 
v_cmp_eq_u32 vcc, v131, 0x0                        // 
s_cbranch_vccnz label_0065                         // branch to shift d0 r7 mb1 vw0

/******************************************/
/* shift d0 r=1 mb=0 vw0                  */
/******************************************/
label_0033: // r1 mb0 vw0 
s_mov_b32 s32, 0                                   // 
_v_cmpx_eq_u32 s[32:33], v132, s32                 // is thread in edge glvw region
v_and_b32 v128, 63, v[vgprSerial]                  // permute register between threads
v_lshlrev_b32 v128, 2, v128                        // permute register between threads
ds_bpermute_b32 v0, v128, v0, offset:28            // permute edge values
s_waitcnt 0                                        // wait for swizzle operation
ds_bpermute_b32 v1, v128, v1, offset:28            // permute edge values
s_waitcnt 0                                        // wait for swizzle operation
	;; [unrolled: 2-line block ×10, first 2 shown]
ds_bpermute_b32 v10, v128, v10, offset:28          // permute edge values
s_waitcnt 0                                        // wait for swizzle operation
ds_bpermute_b32 v11, v128, v11, offset:28          // permute edge values
s_waitcnt 0                                        // wait for swizzle operation
	;; [unrolled: 2-line block ×42, first 2 shown]
ds_bpermute_b32 v100, v128, v100, offset:28        // permute edge values
s_waitcnt 0                                        // wait for swizzle operation
ds_bpermute_b32 v101, v128, v101, offset:28        // permute edge values
s_waitcnt 0                                        // wait for swizzle operation
	;; [unrolled: 2-line block ×12, first 2 shown]
s_mov_b64 s[32:33], 0xFFFFFFFFFFFFFFFF             // to restore all threads active
s_or_saveexec_b64 vcc, s[32:33]                    // all threads active
s_branch label_0066                                // done shifting


/******************************************/
/* shift d0 r=1 mb=1 vw0                  */
/******************************************/
label_0035: // r1 mb1 vw0 
s_mov_b32 s32, 16                                  // 
_v_cmpx_eq_u32 s[32:33], v132, s32                 // is thread in edge glvw region
v_and_b32 v128, 63, v[vgprSerial]                  // permute register between threads
v_lshlrev_b32 v128, 2, v128                        // permute register between threads
ds_bpermute_b32 v16, v128, v16, offset:28          // permute edge values
s_waitcnt 0                                        // wait for swizzle operation
ds_bpermute_b32 v17, v128, v17, offset:28          // permute edge values
s_waitcnt 0                                        // wait for swizzle operation
	;; [unrolled: 2-line block ×48, first 2 shown]
ds_bpermute_b32 v112, v128, v112, offset:28        // permute edge values
s_waitcnt 0                                        // wait for swizzle operation
ds_bpermute_b32 v113, v128, v113, offset:28        // permute edge values
s_waitcnt 0                                        // wait for swizzle operation
	;; [unrolled: 2-line block ×16, first 2 shown]
s_mov_b64 s[32:33], 0xFFFFFFFFFFFFFFFF             // to restore all threads active
s_or_saveexec_b64 vcc, s[32:33]                    // all threads active
s_branch label_0066                                // done shifting


/******************************************/
/* shift d0 r=2 mb=0 vw0                  */
/******************************************/
label_0038: // r2 mb0 vw0 
s_mov_b32 s32, 0                                   // 
_v_cmpx_eq_u32 s[32:33], v132, s32                 // is thread in edge glvw region
v_and_b32 v128, 63, v[vgprSerial]                  // permute register between threads
v_lshlrev_b32 v128, 2, v128                        // permute register between threads
ds_bpermute_b32 v0, v128, v0, offset:24            // permute edge values
s_waitcnt 0                                        // wait for swizzle operation
ds_bpermute_b32 v1, v128, v1, offset:24            // permute edge values
s_waitcnt 0                                        // wait for swizzle operation
	;; [unrolled: 2-line block ×10, first 2 shown]
ds_bpermute_b32 v10, v128, v10, offset:24          // permute edge values
s_waitcnt 0                                        // wait for swizzle operation
ds_bpermute_b32 v11, v128, v11, offset:24          // permute edge values
s_waitcnt 0                                        // wait for swizzle operation
	;; [unrolled: 2-line block ×42, first 2 shown]
ds_bpermute_b32 v100, v128, v100, offset:24        // permute edge values
s_waitcnt 0                                        // wait for swizzle operation
ds_bpermute_b32 v101, v128, v101, offset:24        // permute edge values
s_waitcnt 0                                        // wait for swizzle operation
ds_bpermute_b32 v102, v128, v102, offset:24        // permute edge values
s_waitcnt 0                                        // wait for swizzle operation
ds_bpermute_b32 v103, v128, v103, offset:24        // permute edge values
s_waitcnt 0                                        // wait for swizzle operation
ds_bpermute_b32 v104, v128, v104, offset:24        // permute edge values
s_waitcnt 0                                        // wait for swizzle operation
ds_bpermute_b32 v105, v128, v105, offset:24        // permute edge values
s_waitcnt 0                                        // wait for swizzle operation
ds_bpermute_b32 v106, v128, v106, offset:24        // permute edge values
s_waitcnt 0                                        // wait for swizzle operation
ds_bpermute_b32 v107, v128, v107, offset:24        // permute edge values
s_waitcnt 0                                        // wait for swizzle operation
ds_bpermute_b32 v108, v128, v108, offset:24        // permute edge values
s_waitcnt 0                                        // wait for swizzle operation
ds_bpermute_b32 v109, v128, v109, offset:24        // permute edge values
s_waitcnt 0                                        // wait for swizzle operation
ds_bpermute_b32 v110, v128, v110, offset:24        // permute edge values
s_waitcnt 0                                        // wait for swizzle operation
ds_bpermute_b32 v111, v128, v111, offset:24        // permute edge values
s_waitcnt 0                                        // wait for swizzle operation
s_mov_b64 s[32:33], 0xFFFFFFFFFFFFFFFF             // to restore all threads active
s_or_saveexec_b64 vcc, s[32:33]                    // all threads active
s_branch label_0066                                // done shifting


/******************************************/
/* shift d0 r=2 mb=1 vw0                  */
/******************************************/
label_0040: // r2 mb1 vw0 
s_mov_b32 s32, 16                                  // 
_v_cmpx_eq_u32 s[32:33], v132, s32                 // is thread in edge glvw region
v_and_b32 v128, 63, v[vgprSerial]                  // permute register between threads
v_lshlrev_b32 v128, 2, v128                        // permute register between threads
ds_bpermute_b32 v16, v128, v16, offset:24          // permute edge values
s_waitcnt 0                                        // wait for swizzle operation
ds_bpermute_b32 v17, v128, v17, offset:24          // permute edge values
s_waitcnt 0                                        // wait for swizzle operation
	;; [unrolled: 2-line block ×48, first 2 shown]
ds_bpermute_b32 v112, v128, v112, offset:24        // permute edge values
s_waitcnt 0                                        // wait for swizzle operation
ds_bpermute_b32 v113, v128, v113, offset:24        // permute edge values
s_waitcnt 0                                        // wait for swizzle operation
	;; [unrolled: 2-line block ×16, first 2 shown]
s_mov_b64 s[32:33], 0xFFFFFFFFFFFFFFFF             // to restore all threads active
s_or_saveexec_b64 vcc, s[32:33]                    // all threads active
s_branch label_0066                                // done shifting


/******************************************/
/* shift d0 r=3 mb=0 vw0                  */
/******************************************/
label_0043: // r3 mb0 vw0 
s_mov_b32 s32, 0                                   // 
_v_cmpx_eq_u32 s[32:33], v132, s32                 // is thread in edge glvw region
v_and_b32 v128, 63, v[vgprSerial]                  // permute register between threads
v_lshlrev_b32 v128, 2, v128                        // permute register between threads
ds_bpermute_b32 v0, v128, v0, offset:20            // permute edge values
s_waitcnt 0                                        // wait for swizzle operation
ds_bpermute_b32 v1, v128, v1, offset:20            // permute edge values
s_waitcnt 0                                        // wait for swizzle operation
	;; [unrolled: 2-line block ×10, first 2 shown]
ds_bpermute_b32 v10, v128, v10, offset:20          // permute edge values
s_waitcnt 0                                        // wait for swizzle operation
ds_bpermute_b32 v11, v128, v11, offset:20          // permute edge values
s_waitcnt 0                                        // wait for swizzle operation
	;; [unrolled: 2-line block ×42, first 2 shown]
ds_bpermute_b32 v100, v128, v100, offset:20        // permute edge values
s_waitcnt 0                                        // wait for swizzle operation
ds_bpermute_b32 v101, v128, v101, offset:20        // permute edge values
s_waitcnt 0                                        // wait for swizzle operation
	;; [unrolled: 2-line block ×12, first 2 shown]
s_mov_b64 s[32:33], 0xFFFFFFFFFFFFFFFF             // to restore all threads active
s_or_saveexec_b64 vcc, s[32:33]                    // all threads active
s_branch label_0066                                // done shifting


/******************************************/
/* shift d0 r=3 mb=1 vw0                  */
/******************************************/
label_0045: // r3 mb1 vw0 
s_mov_b32 s32, 16                                  // 
_v_cmpx_eq_u32 s[32:33], v132, s32                 // is thread in edge glvw region
v_and_b32 v128, 63, v[vgprSerial]                  // permute register between threads
v_lshlrev_b32 v128, 2, v128                        // permute register between threads
ds_bpermute_b32 v16, v128, v16, offset:20          // permute edge values
s_waitcnt 0                                        // wait for swizzle operation
ds_bpermute_b32 v17, v128, v17, offset:20          // permute edge values
s_waitcnt 0                                        // wait for swizzle operation
	;; [unrolled: 2-line block ×48, first 2 shown]
ds_bpermute_b32 v112, v128, v112, offset:20        // permute edge values
s_waitcnt 0                                        // wait for swizzle operation
ds_bpermute_b32 v113, v128, v113, offset:20        // permute edge values
s_waitcnt 0                                        // wait for swizzle operation
	;; [unrolled: 2-line block ×16, first 2 shown]
s_mov_b64 s[32:33], 0xFFFFFFFFFFFFFFFF             // to restore all threads active
s_or_saveexec_b64 vcc, s[32:33]                    // all threads active
s_branch label_0066                                // done shifting


/******************************************/
/* shift d0 r=4 mb=0 vw0                  */
/******************************************/
label_0048: // r4 mb0 vw0 
s_mov_b32 s32, 0                                   // 
_v_cmpx_eq_u32 s[32:33], v132, s32                 // is thread in edge glvw region
v_and_b32 v128, 63, v[vgprSerial]                  // permute register between threads
v_lshlrev_b32 v128, 2, v128                        // permute register between threads
ds_bpermute_b32 v0, v128, v0, offset:16            // permute edge values
s_waitcnt 0                                        // wait for swizzle operation
ds_bpermute_b32 v1, v128, v1, offset:16            // permute edge values
s_waitcnt 0                                        // wait for swizzle operation
	;; [unrolled: 2-line block ×10, first 2 shown]
ds_bpermute_b32 v10, v128, v10, offset:16          // permute edge values
s_waitcnt 0                                        // wait for swizzle operation
ds_bpermute_b32 v11, v128, v11, offset:16          // permute edge values
s_waitcnt 0                                        // wait for swizzle operation
	;; [unrolled: 2-line block ×42, first 2 shown]
ds_bpermute_b32 v100, v128, v100, offset:16        // permute edge values
s_waitcnt 0                                        // wait for swizzle operation
ds_bpermute_b32 v101, v128, v101, offset:16        // permute edge values
s_waitcnt 0                                        // wait for swizzle operation
	;; [unrolled: 2-line block ×12, first 2 shown]
s_mov_b64 s[32:33], 0xFFFFFFFFFFFFFFFF             // to restore all threads active
s_or_saveexec_b64 vcc, s[32:33]                    // all threads active
s_branch label_0066                                // done shifting


/******************************************/
/* shift d0 r=4 mb=1 vw0                  */
/******************************************/
label_0050: // r4 mb1 vw0 
s_mov_b32 s32, 16                                  // 
_v_cmpx_eq_u32 s[32:33], v132, s32                 // is thread in edge glvw region
v_and_b32 v128, 63, v[vgprSerial]                  // permute register between threads
v_lshlrev_b32 v128, 2, v128                        // permute register between threads
ds_bpermute_b32 v16, v128, v16, offset:16          // permute edge values
s_waitcnt 0                                        // wait for swizzle operation
ds_bpermute_b32 v17, v128, v17, offset:16          // permute edge values
s_waitcnt 0                                        // wait for swizzle operation
	;; [unrolled: 2-line block ×48, first 2 shown]
ds_bpermute_b32 v112, v128, v112, offset:16        // permute edge values
s_waitcnt 0                                        // wait for swizzle operation
ds_bpermute_b32 v113, v128, v113, offset:16        // permute edge values
s_waitcnt 0                                        // wait for swizzle operation
	;; [unrolled: 2-line block ×16, first 2 shown]
s_mov_b64 s[32:33], 0xFFFFFFFFFFFFFFFF             // to restore all threads active
s_or_saveexec_b64 vcc, s[32:33]                    // all threads active
s_branch label_0066                                // done shifting


/******************************************/
/* shift d0 r=5 mb=0 vw0                  */
/******************************************/
label_0053: // r5 mb0 vw0 
s_mov_b32 s32, 0                                   // 
_v_cmpx_eq_u32 s[32:33], v132, s32                 // is thread in edge glvw region
v_and_b32 v128, 63, v[vgprSerial]                  // permute register between threads
v_lshlrev_b32 v128, 2, v128                        // permute register between threads
ds_bpermute_b32 v0, v128, v0, offset:12            // permute edge values
s_waitcnt 0                                        // wait for swizzle operation
ds_bpermute_b32 v1, v128, v1, offset:12            // permute edge values
s_waitcnt 0                                        // wait for swizzle operation
	;; [unrolled: 2-line block ×10, first 2 shown]
ds_bpermute_b32 v10, v128, v10, offset:12          // permute edge values
s_waitcnt 0                                        // wait for swizzle operation
ds_bpermute_b32 v11, v128, v11, offset:12          // permute edge values
s_waitcnt 0                                        // wait for swizzle operation
	;; [unrolled: 2-line block ×42, first 2 shown]
ds_bpermute_b32 v100, v128, v100, offset:12        // permute edge values
s_waitcnt 0                                        // wait for swizzle operation
ds_bpermute_b32 v101, v128, v101, offset:12        // permute edge values
s_waitcnt 0                                        // wait for swizzle operation
ds_bpermute_b32 v102, v128, v102, offset:12        // permute edge values
s_waitcnt 0                                        // wait for swizzle operation
ds_bpermute_b32 v103, v128, v103, offset:12        // permute edge values
s_waitcnt 0                                        // wait for swizzle operation
ds_bpermute_b32 v104, v128, v104, offset:12        // permute edge values
s_waitcnt 0                                        // wait for swizzle operation
ds_bpermute_b32 v105, v128, v105, offset:12        // permute edge values
s_waitcnt 0                                        // wait for swizzle operation
ds_bpermute_b32 v106, v128, v106, offset:12        // permute edge values
s_waitcnt 0                                        // wait for swizzle operation
ds_bpermute_b32 v107, v128, v107, offset:12        // permute edge values
s_waitcnt 0                                        // wait for swizzle operation
ds_bpermute_b32 v108, v128, v108, offset:12        // permute edge values
s_waitcnt 0                                        // wait for swizzle operation
ds_bpermute_b32 v109, v128, v109, offset:12        // permute edge values
s_waitcnt 0                                        // wait for swizzle operation
ds_bpermute_b32 v110, v128, v110, offset:12        // permute edge values
s_waitcnt 0                                        // wait for swizzle operation
ds_bpermute_b32 v111, v128, v111, offset:12        // permute edge values
s_waitcnt 0                                        // wait for swizzle operation
s_mov_b64 s[32:33], 0xFFFFFFFFFFFFFFFF             // to restore all threads active
s_or_saveexec_b64 vcc, s[32:33]                    // all threads active
s_branch label_0066                                // done shifting


/******************************************/
/* shift d0 r=5 mb=1 vw0                  */
/******************************************/
label_0055: // r5 mb1 vw0 
s_mov_b32 s32, 16                                  // 
_v_cmpx_eq_u32 s[32:33], v132, s32                 // is thread in edge glvw region
v_and_b32 v128, 63, v[vgprSerial]                  // permute register between threads
v_lshlrev_b32 v128, 2, v128                        // permute register between threads
ds_bpermute_b32 v16, v128, v16, offset:12          // permute edge values
s_waitcnt 0                                        // wait for swizzle operation
ds_bpermute_b32 v17, v128, v17, offset:12          // permute edge values
s_waitcnt 0                                        // wait for swizzle operation
	;; [unrolled: 2-line block ×48, first 2 shown]
ds_bpermute_b32 v112, v128, v112, offset:12        // permute edge values
s_waitcnt 0                                        // wait for swizzle operation
ds_bpermute_b32 v113, v128, v113, offset:12        // permute edge values
s_waitcnt 0                                        // wait for swizzle operation
	;; [unrolled: 2-line block ×16, first 2 shown]
s_mov_b64 s[32:33], 0xFFFFFFFFFFFFFFFF             // to restore all threads active
s_or_saveexec_b64 vcc, s[32:33]                    // all threads active
s_branch label_0066                                // done shifting


/******************************************/
/* shift d0 r=6 mb=0 vw0                  */
/******************************************/
label_0058: // r6 mb0 vw0 
s_mov_b32 s32, 0                                   // 
_v_cmpx_eq_u32 s[32:33], v132, s32                 // is thread in edge glvw region
v_and_b32 v128, 63, v[vgprSerial]                  // permute register between threads
v_lshlrev_b32 v128, 2, v128                        // permute register between threads
ds_bpermute_b32 v0, v128, v0, offset:8             // permute edge values
s_waitcnt 0                                        // wait for swizzle operation
ds_bpermute_b32 v1, v128, v1, offset:8             // permute edge values
s_waitcnt 0                                        // wait for swizzle operation
	;; [unrolled: 2-line block ×10, first 2 shown]
ds_bpermute_b32 v10, v128, v10, offset:8           // permute edge values
s_waitcnt 0                                        // wait for swizzle operation
ds_bpermute_b32 v11, v128, v11, offset:8           // permute edge values
s_waitcnt 0                                        // wait for swizzle operation
	;; [unrolled: 2-line block ×42, first 2 shown]
ds_bpermute_b32 v100, v128, v100, offset:8         // permute edge values
s_waitcnt 0                                        // wait for swizzle operation
ds_bpermute_b32 v101, v128, v101, offset:8         // permute edge values
s_waitcnt 0                                        // wait for swizzle operation
	;; [unrolled: 2-line block ×12, first 2 shown]
s_mov_b64 s[32:33], 0xFFFFFFFFFFFFFFFF             // to restore all threads active
s_or_saveexec_b64 vcc, s[32:33]                    // all threads active
s_branch label_0066                                // done shifting


/******************************************/
/* shift d0 r=6 mb=1 vw0                  */
/******************************************/
label_0060: // r6 mb1 vw0 
s_mov_b32 s32, 16                                  // 
_v_cmpx_eq_u32 s[32:33], v132, s32                 // is thread in edge glvw region
v_and_b32 v128, 63, v[vgprSerial]                  // permute register between threads
v_lshlrev_b32 v128, 2, v128                        // permute register between threads
ds_bpermute_b32 v16, v128, v16, offset:8           // permute edge values
s_waitcnt 0                                        // wait for swizzle operation
ds_bpermute_b32 v17, v128, v17, offset:8           // permute edge values
s_waitcnt 0                                        // wait for swizzle operation
	;; [unrolled: 2-line block ×48, first 2 shown]
ds_bpermute_b32 v112, v128, v112, offset:8         // permute edge values
s_waitcnt 0                                        // wait for swizzle operation
ds_bpermute_b32 v113, v128, v113, offset:8         // permute edge values
s_waitcnt 0                                        // wait for swizzle operation
	;; [unrolled: 2-line block ×16, first 2 shown]
s_mov_b64 s[32:33], 0xFFFFFFFFFFFFFFFF             // to restore all threads active
s_or_saveexec_b64 vcc, s[32:33]                    // all threads active
s_branch label_0066                                // done shifting


/******************************************/
/* shift d0 r=7 mb=0 vw0                  */
/******************************************/
label_0063: // r7 mb0 vw0 
s_mov_b32 s32, 0                                   // 
_v_cmpx_eq_u32 s[32:33], v132, s32                 // is thread in edge glvw region
v_and_b32 v128, 63, v[vgprSerial]                  // permute register between threads
v_lshlrev_b32 v128, 2, v128                        // permute register between threads
ds_bpermute_b32 v0, v128, v0, offset:4             // permute edge values
s_waitcnt 0                                        // wait for swizzle operation
ds_bpermute_b32 v1, v128, v1, offset:4             // permute edge values
s_waitcnt 0                                        // wait for swizzle operation
	;; [unrolled: 2-line block ×10, first 2 shown]
ds_bpermute_b32 v10, v128, v10, offset:4           // permute edge values
s_waitcnt 0                                        // wait for swizzle operation
ds_bpermute_b32 v11, v128, v11, offset:4           // permute edge values
s_waitcnt 0                                        // wait for swizzle operation
	;; [unrolled: 2-line block ×42, first 2 shown]
ds_bpermute_b32 v100, v128, v100, offset:4         // permute edge values
s_waitcnt 0                                        // wait for swizzle operation
ds_bpermute_b32 v101, v128, v101, offset:4         // permute edge values
s_waitcnt 0                                        // wait for swizzle operation
	;; [unrolled: 2-line block ×12, first 2 shown]
s_mov_b64 s[32:33], 0xFFFFFFFFFFFFFFFF             // to restore all threads active
s_or_saveexec_b64 vcc, s[32:33]                    // all threads active
s_branch label_0066                                // done shifting


/******************************************/
/* shift d0 r=7 mb=1 vw0                  */
/******************************************/
label_0065: // r7 mb1 vw0 
s_mov_b32 s32, 16                                  // 
_v_cmpx_eq_u32 s[32:33], v132, s32                 // is thread in edge glvw region
v_and_b32 v128, 63, v[vgprSerial]                  // permute register between threads
v_lshlrev_b32 v128, 2, v128                        // permute register between threads
ds_bpermute_b32 v16, v128, v16, offset:4           // permute edge values
s_waitcnt 0                                        // wait for swizzle operation
ds_bpermute_b32 v17, v128, v17, offset:4           // permute edge values
s_waitcnt 0                                        // wait for swizzle operation
	;; [unrolled: 2-line block ×48, first 2 shown]
ds_bpermute_b32 v112, v128, v112, offset:4         // permute edge values
s_waitcnt 0                                        // wait for swizzle operation
ds_bpermute_b32 v113, v128, v113, offset:4         // permute edge values
s_waitcnt 0                                        // wait for swizzle operation
	;; [unrolled: 2-line block ×16, first 2 shown]
s_mov_b64 s[32:33], 0xFFFFFFFFFFFFFFFF             // to restore all threads active
s_or_saveexec_b64 vcc, s[32:33]                    // all threads active
s_branch label_0066                                // done shifting

label_0066: // end shift0


/* shift vector components d1 */

v_mov_b32 v129, s[sgprWorkGroup1]                  // 
v_mul_i32_i24 v129, -0x80, v129                    // wg*MT
_v_add_co_u32 v129, vcc, s[sgprSizesFree+1], v129  // wgMT = Size - wg*MT
v_mov_b32 v130, 0x80                               // MT
v_min_u32 v129, v130, v129                         // wgMT = (wgMT < MT) ? wgMT : MT
v_lshrrev_b32 v128, 8, v[vgprSerial]               // v128 = v[vgprSerial] / 256
v_and_b32 v131, 0, v128                            // v131 = v128 % 1
v_lshrrev_b32 v128, 5, v129                        // v128 = v129 / 32
v_and_b32 v132, 0, v128                            // v132 = v128 % 1
v_cmp_eq_u32 s[32:33], v132, v131                  // wave_id == block_belong_to_wave?
v_cndmask_b32 v129, v130, v129, s[32:33]           // wgMT = (wgMT < MT) ? wgMT : MT

/* mbReg: which mb block need to shift, mb(matrixInstCoal(32) * VectorWidth(1)) */
v_lshrrev_b32 v130, 3, v129                        // v130 = v129 / 8
v_lshlrev_b32 v132, 0x2, v131                      // v132 = v131 * 4
_v_sub_u32 v130, v130, v132                        // 

/* gbReg: glvw block id */
v_lshrrev_b32 v132, 3, v129                        // v132 = v129 / 8

/* tgbReg: glvw block id */
v_lshrrev_b32 v128, 5, v[vgprSerial]               // v128 = v[vgprSerial] / 32
v_and_b32 v133, 1, v128                            // v133 = v128 % 2
v_lshlrev_b32 v133, 0x2, v133                      // v133 = v133 * 4
v_lshrrev_b32 v133, 3, v133                        // v133 = v133 / 8
v_lshlrev_b32 v131, 0x2, v131                      // v131 = v131 * 4
_v_add_co_u32 v133, vcc, v131, v133                // tgbReg = (tid_coal * continOut) / GLVW
_v_sub_u32 v132, v132, v133                        // 

/* vwReg: glvw in which vw block? */
v_and_b32 v131, 3, v129                            // permute register between threads
v_lshrrev_b32 v131, 3, v131                        // permute register between threads

/* rReg : reminder of M_size % GlobalLoadVectorWidth */
v_and_b32 v133, 7, v129                            // v133 = v129 % 8
v_cmp_eq_u32 vcc, v133, 0x1                        // wgMT%VW == 1
s_cbranch_vccnz label_0071                         // branch to shift d1 r=1
v_cmp_eq_u32 vcc, v133, 0x2                        // wgMT%VW == 2
s_cbranch_vccnz label_0104                         // branch to shift d1 r=2
v_cmp_eq_u32 vcc, v133, 0x3                        // wgMT%VW == 3
s_cbranch_vccnz label_0137                         // branch to shift d1 r=3
v_cmp_eq_u32 vcc, v133, 0x4                        // wgMT%VW == 4
s_cbranch_vccnz label_0170                         // branch to shift d1 r=4
v_cmp_eq_u32 vcc, v133, 0x5                        // wgMT%VW == 5
s_cbranch_vccnz label_0203                         // branch to shift d1 r=5
v_cmp_eq_u32 vcc, v133, 0x6                        // wgMT%VW == 6
s_cbranch_vccnz label_0236                         // branch to shift d1 r=6
v_cmp_eq_u32 vcc, v133, 0x7                        // wgMT%VW == 7
s_cbranch_vccnz label_0269                         // branch to shift d1 r=7
s_branch label_0302                                // no shifting

/******************************************/
/* shift d1 r=1                           */
/******************************************/
label_0071:
v_cmp_eq_u32 vcc, v130, 0x0                        // 
s_cbranch_vccnz label_0072                         // branch to shift d1 r1 mb0
v_cmp_eq_u32 vcc, v130, 0x1                        // 
s_cbranch_vccnz label_0074                         // branch to shift d1 r1 mb1
v_cmp_eq_u32 vcc, v130, 0x2                        // 
s_cbranch_vccnz label_0076                         // branch to shift d1 r1 mb2
v_cmp_eq_u32 vcc, v130, 0x3                        // 
s_cbranch_vccnz label_0078                         // branch to shift d1 r1 mb3
v_cmp_eq_u32 vcc, v130, 0x4                        // 
s_cbranch_vccnz label_0080                         // branch to shift d1 r1 mb4
v_cmp_eq_u32 vcc, v130, 0x5                        // 
s_cbranch_vccnz label_0082                         // branch to shift d1 r1 mb5
v_cmp_eq_u32 vcc, v130, 0x6                        // 
s_cbranch_vccnz label_0084                         // branch to shift d1 r1 mb6
v_cmp_eq_u32 vcc, v130, 0x7                        // 
s_cbranch_vccnz label_0086                         // branch to shift d1 r1 mb7
v_cmp_eq_u32 vcc, v130, 0x8                        // 
s_cbranch_vccnz label_0088                         // branch to shift d1 r1 mb8
v_cmp_eq_u32 vcc, v130, 0x9                        // 
s_cbranch_vccnz label_0090                         // branch to shift d1 r1 mb9
v_cmp_eq_u32 vcc, v130, 0xa                        // 
s_cbranch_vccnz label_0092                         // branch to shift d1 r1 mb10
v_cmp_eq_u32 vcc, v130, 0xb                        // 
s_cbranch_vccnz label_0094                         // branch to shift d1 r1 mb11
v_cmp_eq_u32 vcc, v130, 0xc                        // 
s_cbranch_vccnz label_0096                         // branch to shift d1 r1 mb12
v_cmp_eq_u32 vcc, v130, 0xd                        // 
s_cbranch_vccnz label_0098                         // branch to shift d1 r1 mb13
v_cmp_eq_u32 vcc, v130, 0xe                        // 
s_cbranch_vccnz label_0100                         // branch to shift d1 r1 mb14
v_cmp_eq_u32 vcc, v130, 0xf                        // 
s_cbranch_vccnz label_0102                         // branch to shift d1 r1 mb15

/******************************************/
/* shift d1 r=2                           */
/******************************************/
label_0104:
v_cmp_eq_u32 vcc, v130, 0x0                        // 
s_cbranch_vccnz label_0105                         // branch to shift d1 r2 mb0
v_cmp_eq_u32 vcc, v130, 0x1                        // 
s_cbranch_vccnz label_0107                         // branch to shift d1 r2 mb1
v_cmp_eq_u32 vcc, v130, 0x2                        // 
s_cbranch_vccnz label_0109                         // branch to shift d1 r2 mb2
v_cmp_eq_u32 vcc, v130, 0x3                        // 
s_cbranch_vccnz label_0111                         // branch to shift d1 r2 mb3
v_cmp_eq_u32 vcc, v130, 0x4                        // 
s_cbranch_vccnz label_0113                         // branch to shift d1 r2 mb4
v_cmp_eq_u32 vcc, v130, 0x5                        // 
s_cbranch_vccnz label_0115                         // branch to shift d1 r2 mb5
v_cmp_eq_u32 vcc, v130, 0x6                        // 
s_cbranch_vccnz label_0117                         // branch to shift d1 r2 mb6
v_cmp_eq_u32 vcc, v130, 0x7                        // 
s_cbranch_vccnz label_0119                         // branch to shift d1 r2 mb7
v_cmp_eq_u32 vcc, v130, 0x8                        // 
s_cbranch_vccnz label_0121                         // branch to shift d1 r2 mb8
v_cmp_eq_u32 vcc, v130, 0x9                        // 
s_cbranch_vccnz label_0123                         // branch to shift d1 r2 mb9
v_cmp_eq_u32 vcc, v130, 0xa                        // 
s_cbranch_vccnz label_0125                         // branch to shift d1 r2 mb10
v_cmp_eq_u32 vcc, v130, 0xb                        // 
s_cbranch_vccnz label_0127                         // branch to shift d1 r2 mb11
v_cmp_eq_u32 vcc, v130, 0xc                        // 
s_cbranch_vccnz label_0129                         // branch to shift d1 r2 mb12
v_cmp_eq_u32 vcc, v130, 0xd                        // 
s_cbranch_vccnz label_0131                         // branch to shift d1 r2 mb13
v_cmp_eq_u32 vcc, v130, 0xe                        // 
s_cbranch_vccnz label_0133                         // branch to shift d1 r2 mb14
v_cmp_eq_u32 vcc, v130, 0xf                        // 
s_cbranch_vccnz label_0135                         // branch to shift d1 r2 mb15

/******************************************/
/* shift d1 r=3                           */
/******************************************/
label_0137:
v_cmp_eq_u32 vcc, v130, 0x0                        // 
s_cbranch_vccnz label_0138                         // branch to shift d1 r3 mb0
v_cmp_eq_u32 vcc, v130, 0x1                        // 
s_cbranch_vccnz label_0140                         // branch to shift d1 r3 mb1
v_cmp_eq_u32 vcc, v130, 0x2                        // 
s_cbranch_vccnz label_0142                         // branch to shift d1 r3 mb2
v_cmp_eq_u32 vcc, v130, 0x3                        // 
s_cbranch_vccnz label_0144                         // branch to shift d1 r3 mb3
v_cmp_eq_u32 vcc, v130, 0x4                        // 
s_cbranch_vccnz label_0146                         // branch to shift d1 r3 mb4
v_cmp_eq_u32 vcc, v130, 0x5                        // 
s_cbranch_vccnz label_0148                         // branch to shift d1 r3 mb5
v_cmp_eq_u32 vcc, v130, 0x6                        // 
s_cbranch_vccnz label_0150                         // branch to shift d1 r3 mb6
v_cmp_eq_u32 vcc, v130, 0x7                        // 
s_cbranch_vccnz label_0152                         // branch to shift d1 r3 mb7
v_cmp_eq_u32 vcc, v130, 0x8                        // 
s_cbranch_vccnz label_0154                         // branch to shift d1 r3 mb8
v_cmp_eq_u32 vcc, v130, 0x9                        // 
s_cbranch_vccnz label_0156                         // branch to shift d1 r3 mb9
v_cmp_eq_u32 vcc, v130, 0xa                        // 
s_cbranch_vccnz label_0158                         // branch to shift d1 r3 mb10
v_cmp_eq_u32 vcc, v130, 0xb                        // 
s_cbranch_vccnz label_0160                         // branch to shift d1 r3 mb11
v_cmp_eq_u32 vcc, v130, 0xc                        // 
s_cbranch_vccnz label_0162                         // branch to shift d1 r3 mb12
v_cmp_eq_u32 vcc, v130, 0xd                        // 
s_cbranch_vccnz label_0164                         // branch to shift d1 r3 mb13
v_cmp_eq_u32 vcc, v130, 0xe                        // 
s_cbranch_vccnz label_0166                         // branch to shift d1 r3 mb14
v_cmp_eq_u32 vcc, v130, 0xf                        // 
s_cbranch_vccnz label_0168                         // branch to shift d1 r3 mb15

/******************************************/
/* shift d1 r=4                           */
/******************************************/
label_0170:
v_cmp_eq_u32 vcc, v130, 0x0                        // 
s_cbranch_vccnz label_0171                         // branch to shift d1 r4 mb0
v_cmp_eq_u32 vcc, v130, 0x1                        // 
s_cbranch_vccnz label_0173                         // branch to shift d1 r4 mb1
v_cmp_eq_u32 vcc, v130, 0x2                        // 
s_cbranch_vccnz label_0175                         // branch to shift d1 r4 mb2
v_cmp_eq_u32 vcc, v130, 0x3                        // 
s_cbranch_vccnz label_0177                         // branch to shift d1 r4 mb3
v_cmp_eq_u32 vcc, v130, 0x4                        // 
s_cbranch_vccnz label_0179                         // branch to shift d1 r4 mb4
v_cmp_eq_u32 vcc, v130, 0x5                        // 
s_cbranch_vccnz label_0181                         // branch to shift d1 r4 mb5
v_cmp_eq_u32 vcc, v130, 0x6                        // 
s_cbranch_vccnz label_0183                         // branch to shift d1 r4 mb6
v_cmp_eq_u32 vcc, v130, 0x7                        // 
s_cbranch_vccnz label_0185                         // branch to shift d1 r4 mb7
v_cmp_eq_u32 vcc, v130, 0x8                        // 
s_cbranch_vccnz label_0187                         // branch to shift d1 r4 mb8
v_cmp_eq_u32 vcc, v130, 0x9                        // 
s_cbranch_vccnz label_0189                         // branch to shift d1 r4 mb9
v_cmp_eq_u32 vcc, v130, 0xa                        // 
s_cbranch_vccnz label_0191                         // branch to shift d1 r4 mb10
v_cmp_eq_u32 vcc, v130, 0xb                        // 
s_cbranch_vccnz label_0193                         // branch to shift d1 r4 mb11
v_cmp_eq_u32 vcc, v130, 0xc                        // 
s_cbranch_vccnz label_0195                         // branch to shift d1 r4 mb12
v_cmp_eq_u32 vcc, v130, 0xd                        // 
s_cbranch_vccnz label_0197                         // branch to shift d1 r4 mb13
v_cmp_eq_u32 vcc, v130, 0xe                        // 
s_cbranch_vccnz label_0199                         // branch to shift d1 r4 mb14
v_cmp_eq_u32 vcc, v130, 0xf                        // 
s_cbranch_vccnz label_0201                         // branch to shift d1 r4 mb15

/******************************************/
/* shift d1 r=5                           */
/******************************************/
label_0203:
v_cmp_eq_u32 vcc, v130, 0x0                        // 
s_cbranch_vccnz label_0204                         // branch to shift d1 r5 mb0
v_cmp_eq_u32 vcc, v130, 0x1                        // 
s_cbranch_vccnz label_0206                         // branch to shift d1 r5 mb1
v_cmp_eq_u32 vcc, v130, 0x2                        // 
s_cbranch_vccnz label_0208                         // branch to shift d1 r5 mb2
v_cmp_eq_u32 vcc, v130, 0x3                        // 
s_cbranch_vccnz label_0210                         // branch to shift d1 r5 mb3
v_cmp_eq_u32 vcc, v130, 0x4                        // 
s_cbranch_vccnz label_0212                         // branch to shift d1 r5 mb4
v_cmp_eq_u32 vcc, v130, 0x5                        // 
s_cbranch_vccnz label_0214                         // branch to shift d1 r5 mb5
v_cmp_eq_u32 vcc, v130, 0x6                        // 
s_cbranch_vccnz label_0216                         // branch to shift d1 r5 mb6
v_cmp_eq_u32 vcc, v130, 0x7                        // 
s_cbranch_vccnz label_0218                         // branch to shift d1 r5 mb7
v_cmp_eq_u32 vcc, v130, 0x8                        // 
s_cbranch_vccnz label_0220                         // branch to shift d1 r5 mb8
v_cmp_eq_u32 vcc, v130, 0x9                        // 
s_cbranch_vccnz label_0222                         // branch to shift d1 r5 mb9
v_cmp_eq_u32 vcc, v130, 0xa                        // 
s_cbranch_vccnz label_0224                         // branch to shift d1 r5 mb10
v_cmp_eq_u32 vcc, v130, 0xb                        // 
s_cbranch_vccnz label_0226                         // branch to shift d1 r5 mb11
v_cmp_eq_u32 vcc, v130, 0xc                        // 
s_cbranch_vccnz label_0228                         // branch to shift d1 r5 mb12
v_cmp_eq_u32 vcc, v130, 0xd                        // 
s_cbranch_vccnz label_0230                         // branch to shift d1 r5 mb13
v_cmp_eq_u32 vcc, v130, 0xe                        // 
s_cbranch_vccnz label_0232                         // branch to shift d1 r5 mb14
v_cmp_eq_u32 vcc, v130, 0xf                        // 
s_cbranch_vccnz label_0234                         // branch to shift d1 r5 mb15

/******************************************/
/* shift d1 r=6                           */
/******************************************/
label_0236:
v_cmp_eq_u32 vcc, v130, 0x0                        // 
s_cbranch_vccnz label_0237                         // branch to shift d1 r6 mb0
v_cmp_eq_u32 vcc, v130, 0x1                        // 
s_cbranch_vccnz label_0239                         // branch to shift d1 r6 mb1
v_cmp_eq_u32 vcc, v130, 0x2                        // 
s_cbranch_vccnz label_0241                         // branch to shift d1 r6 mb2
v_cmp_eq_u32 vcc, v130, 0x3                        // 
s_cbranch_vccnz label_0243                         // branch to shift d1 r6 mb3
v_cmp_eq_u32 vcc, v130, 0x4                        // 
s_cbranch_vccnz label_0245                         // branch to shift d1 r6 mb4
v_cmp_eq_u32 vcc, v130, 0x5                        // 
s_cbranch_vccnz label_0247                         // branch to shift d1 r6 mb5
v_cmp_eq_u32 vcc, v130, 0x6                        // 
s_cbranch_vccnz label_0249                         // branch to shift d1 r6 mb6
v_cmp_eq_u32 vcc, v130, 0x7                        // 
s_cbranch_vccnz label_0251                         // branch to shift d1 r6 mb7
v_cmp_eq_u32 vcc, v130, 0x8                        // 
s_cbranch_vccnz label_0253                         // branch to shift d1 r6 mb8
v_cmp_eq_u32 vcc, v130, 0x9                        // 
s_cbranch_vccnz label_0255                         // branch to shift d1 r6 mb9
v_cmp_eq_u32 vcc, v130, 0xa                        // 
s_cbranch_vccnz label_0257                         // branch to shift d1 r6 mb10
v_cmp_eq_u32 vcc, v130, 0xb                        // 
s_cbranch_vccnz label_0259                         // branch to shift d1 r6 mb11
v_cmp_eq_u32 vcc, v130, 0xc                        // 
s_cbranch_vccnz label_0261                         // branch to shift d1 r6 mb12
v_cmp_eq_u32 vcc, v130, 0xd                        // 
s_cbranch_vccnz label_0263                         // branch to shift d1 r6 mb13
v_cmp_eq_u32 vcc, v130, 0xe                        // 
s_cbranch_vccnz label_0265                         // branch to shift d1 r6 mb14
v_cmp_eq_u32 vcc, v130, 0xf                        // 
s_cbranch_vccnz label_0267                         // branch to shift d1 r6 mb15

/******************************************/
/* shift d1 r=7                           */
/******************************************/
label_0269:
v_cmp_eq_u32 vcc, v130, 0x0                        // 
s_cbranch_vccnz label_0270                         // branch to shift d1 r7 mb0
v_cmp_eq_u32 vcc, v130, 0x1                        // 
s_cbranch_vccnz label_0272                         // branch to shift d1 r7 mb1
v_cmp_eq_u32 vcc, v130, 0x2                        // 
s_cbranch_vccnz label_0274                         // branch to shift d1 r7 mb2
v_cmp_eq_u32 vcc, v130, 0x3                        // 
s_cbranch_vccnz label_0276                         // branch to shift d1 r7 mb3
v_cmp_eq_u32 vcc, v130, 0x4                        // 
s_cbranch_vccnz label_0278                         // branch to shift d1 r7 mb4
v_cmp_eq_u32 vcc, v130, 0x5                        // 
s_cbranch_vccnz label_0280                         // branch to shift d1 r7 mb5
v_cmp_eq_u32 vcc, v130, 0x6                        // 
s_cbranch_vccnz label_0282                         // branch to shift d1 r7 mb6
v_cmp_eq_u32 vcc, v130, 0x7                        // 
s_cbranch_vccnz label_0284                         // branch to shift d1 r7 mb7
v_cmp_eq_u32 vcc, v130, 0x8                        // 
s_cbranch_vccnz label_0286                         // branch to shift d1 r7 mb8
v_cmp_eq_u32 vcc, v130, 0x9                        // 
s_cbranch_vccnz label_0288                         // branch to shift d1 r7 mb9
v_cmp_eq_u32 vcc, v130, 0xa                        // 
s_cbranch_vccnz label_0290                         // branch to shift d1 r7 mb10
v_cmp_eq_u32 vcc, v130, 0xb                        // 
s_cbranch_vccnz label_0292                         // branch to shift d1 r7 mb11
v_cmp_eq_u32 vcc, v130, 0xc                        // 
s_cbranch_vccnz label_0294                         // branch to shift d1 r7 mb12
v_cmp_eq_u32 vcc, v130, 0xd                        // 
s_cbranch_vccnz label_0296                         // branch to shift d1 r7 mb13
v_cmp_eq_u32 vcc, v130, 0xe                        // 
s_cbranch_vccnz label_0298                         // branch to shift d1 r7 mb14
v_cmp_eq_u32 vcc, v130, 0xf                        // 
s_cbranch_vccnz label_0300                         // branch to shift d1 r7 mb15

/******************************************/
/* shift d1 r=1 mb=0                      */
/******************************************/
label_0072: // r1 mb0 
v_cmp_eq_u32 vcc, v131, 0x0                        // 
s_cbranch_vccnz label_0073                         // branch to shift d1 r1 mb0 vw0

/******************************************/
/* shift d1 r=1 mb=1                      */
/******************************************/
label_0074: // r1 mb1 
v_cmp_eq_u32 vcc, v131, 0x0                        // 
s_cbranch_vccnz label_0075                         // branch to shift d1 r1 mb1 vw0

/******************************************/
/* shift d1 r=1 mb=2                      */
/******************************************/
label_0076: // r1 mb2 
v_cmp_eq_u32 vcc, v131, 0x0                        // 
s_cbranch_vccnz label_0077                         // branch to shift d1 r1 mb2 vw0

/******************************************/
/* shift d1 r=1 mb=3                      */
/******************************************/
label_0078: // r1 mb3 
v_cmp_eq_u32 vcc, v131, 0x0                        // 
s_cbranch_vccnz label_0079                         // branch to shift d1 r1 mb3 vw0

/******************************************/
/* shift d1 r=1 mb=4                      */
/******************************************/
label_0080: // r1 mb4 
v_cmp_eq_u32 vcc, v131, 0x0                        // 
s_cbranch_vccnz label_0081                         // branch to shift d1 r1 mb4 vw0

/******************************************/
/* shift d1 r=1 mb=5                      */
/******************************************/
label_0082: // r1 mb5 
v_cmp_eq_u32 vcc, v131, 0x0                        // 
s_cbranch_vccnz label_0083                         // branch to shift d1 r1 mb5 vw0

/******************************************/
/* shift d1 r=1 mb=6                      */
/******************************************/
label_0084: // r1 mb6 
v_cmp_eq_u32 vcc, v131, 0x0                        // 
s_cbranch_vccnz label_0085                         // branch to shift d1 r1 mb6 vw0

/******************************************/
/* shift d1 r=1 mb=7                      */
/******************************************/
label_0086: // r1 mb7 
v_cmp_eq_u32 vcc, v131, 0x0                        // 
s_cbranch_vccnz label_0087                         // branch to shift d1 r1 mb7 vw0

/******************************************/
/* shift d1 r=1 mb=8                      */
/******************************************/
label_0088: // r1 mb8 
v_cmp_eq_u32 vcc, v131, 0x0                        // 
s_cbranch_vccnz label_0089                         // branch to shift d1 r1 mb8 vw0

/******************************************/
/* shift d1 r=1 mb=9                      */
/******************************************/
label_0090: // r1 mb9 
v_cmp_eq_u32 vcc, v131, 0x0                        // 
s_cbranch_vccnz label_0091                         // branch to shift d1 r1 mb9 vw0

/******************************************/
/* shift d1 r=1 mb=10                     */
/******************************************/
label_0092: // r1 mb10 
v_cmp_eq_u32 vcc, v131, 0x0                        // 
s_cbranch_vccnz label_0093                         // branch to shift d1 r1 mb10 vw0

/******************************************/
/* shift d1 r=1 mb=11                     */
/******************************************/
label_0094: // r1 mb11 
v_cmp_eq_u32 vcc, v131, 0x0                        // 
s_cbranch_vccnz label_0095                         // branch to shift d1 r1 mb11 vw0

/******************************************/
/* shift d1 r=1 mb=12                     */
/******************************************/
label_0096: // r1 mb12 
v_cmp_eq_u32 vcc, v131, 0x0                        // 
s_cbranch_vccnz label_0097                         // branch to shift d1 r1 mb12 vw0

/******************************************/
/* shift d1 r=1 mb=13                     */
/******************************************/
label_0098: // r1 mb13 
v_cmp_eq_u32 vcc, v131, 0x0                        // 
s_cbranch_vccnz label_0099                         // branch to shift d1 r1 mb13 vw0

/******************************************/
/* shift d1 r=1 mb=14                     */
/******************************************/
label_0100: // r1 mb14 
v_cmp_eq_u32 vcc, v131, 0x0                        // 
s_cbranch_vccnz label_0101                         // branch to shift d1 r1 mb14 vw0

/******************************************/
/* shift d1 r=1 mb=15                     */
/******************************************/
label_0102: // r1 mb15 
v_cmp_eq_u32 vcc, v131, 0x0                        // 
s_cbranch_vccnz label_0103                         // branch to shift d1 r1 mb15 vw0

/******************************************/
/* shift d1 r=2 mb=0                      */
/******************************************/
label_0105: // r2 mb0 
v_cmp_eq_u32 vcc, v131, 0x0                        // 
s_cbranch_vccnz label_0106                         // branch to shift d1 r2 mb0 vw0

/******************************************/
/* shift d1 r=2 mb=1                      */
/******************************************/
label_0107: // r2 mb1 
v_cmp_eq_u32 vcc, v131, 0x0                        // 
s_cbranch_vccnz label_0108                         // branch to shift d1 r2 mb1 vw0

/******************************************/
/* shift d1 r=2 mb=2                      */
/******************************************/
label_0109: // r2 mb2 
v_cmp_eq_u32 vcc, v131, 0x0                        // 
s_cbranch_vccnz label_0110                         // branch to shift d1 r2 mb2 vw0

/******************************************/
/* shift d1 r=2 mb=3                      */
/******************************************/
label_0111: // r2 mb3 
v_cmp_eq_u32 vcc, v131, 0x0                        // 
s_cbranch_vccnz label_0112                         // branch to shift d1 r2 mb3 vw0

/******************************************/
/* shift d1 r=2 mb=4                      */
/******************************************/
label_0113: // r2 mb4 
v_cmp_eq_u32 vcc, v131, 0x0                        // 
s_cbranch_vccnz label_0114                         // branch to shift d1 r2 mb4 vw0

/******************************************/
/* shift d1 r=2 mb=5                      */
/******************************************/
label_0115: // r2 mb5 
v_cmp_eq_u32 vcc, v131, 0x0                        // 
s_cbranch_vccnz label_0116                         // branch to shift d1 r2 mb5 vw0

/******************************************/
/* shift d1 r=2 mb=6                      */
/******************************************/
label_0117: // r2 mb6 
v_cmp_eq_u32 vcc, v131, 0x0                        // 
s_cbranch_vccnz label_0118                         // branch to shift d1 r2 mb6 vw0

/******************************************/
/* shift d1 r=2 mb=7                      */
/******************************************/
label_0119: // r2 mb7 
v_cmp_eq_u32 vcc, v131, 0x0                        // 
s_cbranch_vccnz label_0120                         // branch to shift d1 r2 mb7 vw0

/******************************************/
/* shift d1 r=2 mb=8                      */
/******************************************/
label_0121: // r2 mb8 
v_cmp_eq_u32 vcc, v131, 0x0                        // 
s_cbranch_vccnz label_0122                         // branch to shift d1 r2 mb8 vw0

/******************************************/
/* shift d1 r=2 mb=9                      */
/******************************************/
label_0123: // r2 mb9 
v_cmp_eq_u32 vcc, v131, 0x0                        // 
s_cbranch_vccnz label_0124                         // branch to shift d1 r2 mb9 vw0

/******************************************/
/* shift d1 r=2 mb=10                     */
/******************************************/
label_0125: // r2 mb10 
v_cmp_eq_u32 vcc, v131, 0x0                        // 
s_cbranch_vccnz label_0126                         // branch to shift d1 r2 mb10 vw0

/******************************************/
/* shift d1 r=2 mb=11                     */
/******************************************/
label_0127: // r2 mb11 
v_cmp_eq_u32 vcc, v131, 0x0                        // 
s_cbranch_vccnz label_0128                         // branch to shift d1 r2 mb11 vw0

/******************************************/
/* shift d1 r=2 mb=12                     */
/******************************************/
label_0129: // r2 mb12 
v_cmp_eq_u32 vcc, v131, 0x0                        // 
s_cbranch_vccnz label_0130                         // branch to shift d1 r2 mb12 vw0

/******************************************/
/* shift d1 r=2 mb=13                     */
/******************************************/
label_0131: // r2 mb13 
v_cmp_eq_u32 vcc, v131, 0x0                        // 
s_cbranch_vccnz label_0132                         // branch to shift d1 r2 mb13 vw0

/******************************************/
/* shift d1 r=2 mb=14                     */
/******************************************/
label_0133: // r2 mb14 
v_cmp_eq_u32 vcc, v131, 0x0                        // 
s_cbranch_vccnz label_0134                         // branch to shift d1 r2 mb14 vw0

/******************************************/
/* shift d1 r=2 mb=15                     */
/******************************************/
label_0135: // r2 mb15 
v_cmp_eq_u32 vcc, v131, 0x0                        // 
s_cbranch_vccnz label_0136                         // branch to shift d1 r2 mb15 vw0

/******************************************/
/* shift d1 r=3 mb=0                      */
/******************************************/
label_0138: // r3 mb0 
v_cmp_eq_u32 vcc, v131, 0x0                        // 
s_cbranch_vccnz label_0139                         // branch to shift d1 r3 mb0 vw0

/******************************************/
/* shift d1 r=3 mb=1                      */
/******************************************/
label_0140: // r3 mb1 
v_cmp_eq_u32 vcc, v131, 0x0                        // 
s_cbranch_vccnz label_0141                         // branch to shift d1 r3 mb1 vw0

/******************************************/
/* shift d1 r=3 mb=2                      */
/******************************************/
label_0142: // r3 mb2 
v_cmp_eq_u32 vcc, v131, 0x0                        // 
s_cbranch_vccnz label_0143                         // branch to shift d1 r3 mb2 vw0

/******************************************/
/* shift d1 r=3 mb=3                      */
/******************************************/
label_0144: // r3 mb3 
v_cmp_eq_u32 vcc, v131, 0x0                        // 
s_cbranch_vccnz label_0145                         // branch to shift d1 r3 mb3 vw0

/******************************************/
/* shift d1 r=3 mb=4                      */
/******************************************/
label_0146: // r3 mb4 
v_cmp_eq_u32 vcc, v131, 0x0                        // 
s_cbranch_vccnz label_0147                         // branch to shift d1 r3 mb4 vw0

/******************************************/
/* shift d1 r=3 mb=5                      */
/******************************************/
label_0148: // r3 mb5 
v_cmp_eq_u32 vcc, v131, 0x0                        // 
s_cbranch_vccnz label_0149                         // branch to shift d1 r3 mb5 vw0

/******************************************/
/* shift d1 r=3 mb=6                      */
/******************************************/
label_0150: // r3 mb6 
v_cmp_eq_u32 vcc, v131, 0x0                        // 
s_cbranch_vccnz label_0151                         // branch to shift d1 r3 mb6 vw0

/******************************************/
/* shift d1 r=3 mb=7                      */
/******************************************/
label_0152: // r3 mb7 
v_cmp_eq_u32 vcc, v131, 0x0                        // 
s_cbranch_vccnz label_0153                         // branch to shift d1 r3 mb7 vw0

/******************************************/
/* shift d1 r=3 mb=8                      */
/******************************************/
label_0154: // r3 mb8 
v_cmp_eq_u32 vcc, v131, 0x0                        // 
s_cbranch_vccnz label_0155                         // branch to shift d1 r3 mb8 vw0

/******************************************/
/* shift d1 r=3 mb=9                      */
/******************************************/
label_0156: // r3 mb9 
v_cmp_eq_u32 vcc, v131, 0x0                        // 
s_cbranch_vccnz label_0157                         // branch to shift d1 r3 mb9 vw0

/******************************************/
/* shift d1 r=3 mb=10                     */
/******************************************/
label_0158: // r3 mb10 
v_cmp_eq_u32 vcc, v131, 0x0                        // 
s_cbranch_vccnz label_0159                         // branch to shift d1 r3 mb10 vw0

/******************************************/
/* shift d1 r=3 mb=11                     */
/******************************************/
label_0160: // r3 mb11 
v_cmp_eq_u32 vcc, v131, 0x0                        // 
s_cbranch_vccnz label_0161                         // branch to shift d1 r3 mb11 vw0

/******************************************/
/* shift d1 r=3 mb=12                     */
/******************************************/
label_0162: // r3 mb12 
v_cmp_eq_u32 vcc, v131, 0x0                        // 
s_cbranch_vccnz label_0163                         // branch to shift d1 r3 mb12 vw0

/******************************************/
/* shift d1 r=3 mb=13                     */
/******************************************/
label_0164: // r3 mb13 
v_cmp_eq_u32 vcc, v131, 0x0                        // 
s_cbranch_vccnz label_0165                         // branch to shift d1 r3 mb13 vw0

/******************************************/
/* shift d1 r=3 mb=14                     */
/******************************************/
label_0166: // r3 mb14 
v_cmp_eq_u32 vcc, v131, 0x0                        // 
s_cbranch_vccnz label_0167                         // branch to shift d1 r3 mb14 vw0

/******************************************/
/* shift d1 r=3 mb=15                     */
/******************************************/
label_0168: // r3 mb15 
v_cmp_eq_u32 vcc, v131, 0x0                        // 
s_cbranch_vccnz label_0169                         // branch to shift d1 r3 mb15 vw0

/******************************************/
/* shift d1 r=4 mb=0                      */
/******************************************/
label_0171: // r4 mb0 
v_cmp_eq_u32 vcc, v131, 0x0                        // 
s_cbranch_vccnz label_0172                         // branch to shift d1 r4 mb0 vw0

/******************************************/
/* shift d1 r=4 mb=1                      */
/******************************************/
label_0173: // r4 mb1 
v_cmp_eq_u32 vcc, v131, 0x0                        // 
s_cbranch_vccnz label_0174                         // branch to shift d1 r4 mb1 vw0

/******************************************/
/* shift d1 r=4 mb=2                      */
/******************************************/
label_0175: // r4 mb2 
v_cmp_eq_u32 vcc, v131, 0x0                        // 
s_cbranch_vccnz label_0176                         // branch to shift d1 r4 mb2 vw0

/******************************************/
/* shift d1 r=4 mb=3                      */
/******************************************/
label_0177: // r4 mb3 
v_cmp_eq_u32 vcc, v131, 0x0                        // 
s_cbranch_vccnz label_0178                         // branch to shift d1 r4 mb3 vw0

/******************************************/
/* shift d1 r=4 mb=4                      */
/******************************************/
label_0179: // r4 mb4 
v_cmp_eq_u32 vcc, v131, 0x0                        // 
s_cbranch_vccnz label_0180                         // branch to shift d1 r4 mb4 vw0

/******************************************/
/* shift d1 r=4 mb=5                      */
/******************************************/
label_0181: // r4 mb5 
v_cmp_eq_u32 vcc, v131, 0x0                        // 
s_cbranch_vccnz label_0182                         // branch to shift d1 r4 mb5 vw0

/******************************************/
/* shift d1 r=4 mb=6                      */
/******************************************/
label_0183: // r4 mb6 
v_cmp_eq_u32 vcc, v131, 0x0                        // 
s_cbranch_vccnz label_0184                         // branch to shift d1 r4 mb6 vw0

/******************************************/
/* shift d1 r=4 mb=7                      */
/******************************************/
label_0185: // r4 mb7 
v_cmp_eq_u32 vcc, v131, 0x0                        // 
s_cbranch_vccnz label_0186                         // branch to shift d1 r4 mb7 vw0

/******************************************/
/* shift d1 r=4 mb=8                      */
/******************************************/
label_0187: // r4 mb8 
v_cmp_eq_u32 vcc, v131, 0x0                        // 
s_cbranch_vccnz label_0188                         // branch to shift d1 r4 mb8 vw0

/******************************************/
/* shift d1 r=4 mb=9                      */
/******************************************/
label_0189: // r4 mb9 
v_cmp_eq_u32 vcc, v131, 0x0                        // 
s_cbranch_vccnz label_0190                         // branch to shift d1 r4 mb9 vw0

/******************************************/
/* shift d1 r=4 mb=10                     */
/******************************************/
label_0191: // r4 mb10 
v_cmp_eq_u32 vcc, v131, 0x0                        // 
s_cbranch_vccnz label_0192                         // branch to shift d1 r4 mb10 vw0

/******************************************/
/* shift d1 r=4 mb=11                     */
/******************************************/
label_0193: // r4 mb11 
v_cmp_eq_u32 vcc, v131, 0x0                        // 
s_cbranch_vccnz label_0194                         // branch to shift d1 r4 mb11 vw0

/******************************************/
/* shift d1 r=4 mb=12                     */
/******************************************/
label_0195: // r4 mb12 
v_cmp_eq_u32 vcc, v131, 0x0                        // 
s_cbranch_vccnz label_0196                         // branch to shift d1 r4 mb12 vw0

/******************************************/
/* shift d1 r=4 mb=13                     */
/******************************************/
label_0197: // r4 mb13 
v_cmp_eq_u32 vcc, v131, 0x0                        // 
s_cbranch_vccnz label_0198                         // branch to shift d1 r4 mb13 vw0

/******************************************/
/* shift d1 r=4 mb=14                     */
/******************************************/
label_0199: // r4 mb14 
v_cmp_eq_u32 vcc, v131, 0x0                        // 
s_cbranch_vccnz label_0200                         // branch to shift d1 r4 mb14 vw0

/******************************************/
/* shift d1 r=4 mb=15                     */
/******************************************/
label_0201: // r4 mb15 
v_cmp_eq_u32 vcc, v131, 0x0                        // 
s_cbranch_vccnz label_0202                         // branch to shift d1 r4 mb15 vw0

/******************************************/
/* shift d1 r=5 mb=0                      */
/******************************************/
label_0204: // r5 mb0 
v_cmp_eq_u32 vcc, v131, 0x0                        // 
s_cbranch_vccnz label_0205                         // branch to shift d1 r5 mb0 vw0

/******************************************/
/* shift d1 r=5 mb=1                      */
/******************************************/
label_0206: // r5 mb1 
v_cmp_eq_u32 vcc, v131, 0x0                        // 
s_cbranch_vccnz label_0207                         // branch to shift d1 r5 mb1 vw0

/******************************************/
/* shift d1 r=5 mb=2                      */
/******************************************/
label_0208: // r5 mb2 
v_cmp_eq_u32 vcc, v131, 0x0                        // 
s_cbranch_vccnz label_0209                         // branch to shift d1 r5 mb2 vw0

/******************************************/
/* shift d1 r=5 mb=3                      */
/******************************************/
label_0210: // r5 mb3 
v_cmp_eq_u32 vcc, v131, 0x0                        // 
s_cbranch_vccnz label_0211                         // branch to shift d1 r5 mb3 vw0

/******************************************/
/* shift d1 r=5 mb=4                      */
/******************************************/
label_0212: // r5 mb4 
v_cmp_eq_u32 vcc, v131, 0x0                        // 
s_cbranch_vccnz label_0213                         // branch to shift d1 r5 mb4 vw0

/******************************************/
/* shift d1 r=5 mb=5                      */
/******************************************/
label_0214: // r5 mb5 
v_cmp_eq_u32 vcc, v131, 0x0                        // 
s_cbranch_vccnz label_0215                         // branch to shift d1 r5 mb5 vw0

/******************************************/
/* shift d1 r=5 mb=6                      */
/******************************************/
label_0216: // r5 mb6 
v_cmp_eq_u32 vcc, v131, 0x0                        // 
s_cbranch_vccnz label_0217                         // branch to shift d1 r5 mb6 vw0

/******************************************/
/* shift d1 r=5 mb=7                      */
/******************************************/
label_0218: // r5 mb7 
v_cmp_eq_u32 vcc, v131, 0x0                        // 
s_cbranch_vccnz label_0219                         // branch to shift d1 r5 mb7 vw0

/******************************************/
/* shift d1 r=5 mb=8                      */
/******************************************/
label_0220: // r5 mb8 
v_cmp_eq_u32 vcc, v131, 0x0                        // 
s_cbranch_vccnz label_0221                         // branch to shift d1 r5 mb8 vw0

/******************************************/
/* shift d1 r=5 mb=9                      */
/******************************************/
label_0222: // r5 mb9 
v_cmp_eq_u32 vcc, v131, 0x0                        // 
s_cbranch_vccnz label_0223                         // branch to shift d1 r5 mb9 vw0

/******************************************/
/* shift d1 r=5 mb=10                     */
/******************************************/
label_0224: // r5 mb10 
v_cmp_eq_u32 vcc, v131, 0x0                        // 
s_cbranch_vccnz label_0225                         // branch to shift d1 r5 mb10 vw0

/******************************************/
/* shift d1 r=5 mb=11                     */
/******************************************/
label_0226: // r5 mb11 
v_cmp_eq_u32 vcc, v131, 0x0                        // 
s_cbranch_vccnz label_0227                         // branch to shift d1 r5 mb11 vw0

/******************************************/
/* shift d1 r=5 mb=12                     */
/******************************************/
label_0228: // r5 mb12 
v_cmp_eq_u32 vcc, v131, 0x0                        // 
s_cbranch_vccnz label_0229                         // branch to shift d1 r5 mb12 vw0

/******************************************/
/* shift d1 r=5 mb=13                     */
/******************************************/
label_0230: // r5 mb13 
v_cmp_eq_u32 vcc, v131, 0x0                        // 
s_cbranch_vccnz label_0231                         // branch to shift d1 r5 mb13 vw0

/******************************************/
/* shift d1 r=5 mb=14                     */
/******************************************/
label_0232: // r5 mb14 
v_cmp_eq_u32 vcc, v131, 0x0                        // 
s_cbranch_vccnz label_0233                         // branch to shift d1 r5 mb14 vw0

/******************************************/
/* shift d1 r=5 mb=15                     */
/******************************************/
label_0234: // r5 mb15 
v_cmp_eq_u32 vcc, v131, 0x0                        // 
s_cbranch_vccnz label_0235                         // branch to shift d1 r5 mb15 vw0

/******************************************/
/* shift d1 r=6 mb=0                      */
/******************************************/
label_0237: // r6 mb0 
v_cmp_eq_u32 vcc, v131, 0x0                        // 
s_cbranch_vccnz label_0238                         // branch to shift d1 r6 mb0 vw0

/******************************************/
/* shift d1 r=6 mb=1                      */
/******************************************/
label_0239: // r6 mb1 
v_cmp_eq_u32 vcc, v131, 0x0                        // 
s_cbranch_vccnz label_0240                         // branch to shift d1 r6 mb1 vw0

/******************************************/
/* shift d1 r=6 mb=2                      */
/******************************************/
label_0241: // r6 mb2 
v_cmp_eq_u32 vcc, v131, 0x0                        // 
s_cbranch_vccnz label_0242                         // branch to shift d1 r6 mb2 vw0

/******************************************/
/* shift d1 r=6 mb=3                      */
/******************************************/
label_0243: // r6 mb3 
v_cmp_eq_u32 vcc, v131, 0x0                        // 
s_cbranch_vccnz label_0244                         // branch to shift d1 r6 mb3 vw0

/******************************************/
/* shift d1 r=6 mb=4                      */
/******************************************/
label_0245: // r6 mb4 
v_cmp_eq_u32 vcc, v131, 0x0                        // 
s_cbranch_vccnz label_0246                         // branch to shift d1 r6 mb4 vw0

/******************************************/
/* shift d1 r=6 mb=5                      */
/******************************************/
label_0247: // r6 mb5 
v_cmp_eq_u32 vcc, v131, 0x0                        // 
s_cbranch_vccnz label_0248                         // branch to shift d1 r6 mb5 vw0

/******************************************/
/* shift d1 r=6 mb=6                      */
/******************************************/
label_0249: // r6 mb6 
v_cmp_eq_u32 vcc, v131, 0x0                        // 
s_cbranch_vccnz label_0250                         // branch to shift d1 r6 mb6 vw0

/******************************************/
/* shift d1 r=6 mb=7                      */
/******************************************/
label_0251: // r6 mb7 
v_cmp_eq_u32 vcc, v131, 0x0                        // 
s_cbranch_vccnz label_0252                         // branch to shift d1 r6 mb7 vw0

/******************************************/
/* shift d1 r=6 mb=8                      */
/******************************************/
label_0253: // r6 mb8 
v_cmp_eq_u32 vcc, v131, 0x0                        // 
s_cbranch_vccnz label_0254                         // branch to shift d1 r6 mb8 vw0

/******************************************/
/* shift d1 r=6 mb=9                      */
/******************************************/
label_0255: // r6 mb9 
v_cmp_eq_u32 vcc, v131, 0x0                        // 
s_cbranch_vccnz label_0256                         // branch to shift d1 r6 mb9 vw0

/******************************************/
/* shift d1 r=6 mb=10                     */
/******************************************/
label_0257: // r6 mb10 
v_cmp_eq_u32 vcc, v131, 0x0                        // 
s_cbranch_vccnz label_0258                         // branch to shift d1 r6 mb10 vw0

/******************************************/
/* shift d1 r=6 mb=11                     */
/******************************************/
label_0259: // r6 mb11 
v_cmp_eq_u32 vcc, v131, 0x0                        // 
s_cbranch_vccnz label_0260                         // branch to shift d1 r6 mb11 vw0

/******************************************/
/* shift d1 r=6 mb=12                     */
/******************************************/
label_0261: // r6 mb12 
v_cmp_eq_u32 vcc, v131, 0x0                        // 
s_cbranch_vccnz label_0262                         // branch to shift d1 r6 mb12 vw0

/******************************************/
/* shift d1 r=6 mb=13                     */
/******************************************/
label_0263: // r6 mb13 
v_cmp_eq_u32 vcc, v131, 0x0                        // 
s_cbranch_vccnz label_0264                         // branch to shift d1 r6 mb13 vw0

/******************************************/
/* shift d1 r=6 mb=14                     */
/******************************************/
label_0265: // r6 mb14 
v_cmp_eq_u32 vcc, v131, 0x0                        // 
s_cbranch_vccnz label_0266                         // branch to shift d1 r6 mb14 vw0

/******************************************/
/* shift d1 r=6 mb=15                     */
/******************************************/
label_0267: // r6 mb15 
v_cmp_eq_u32 vcc, v131, 0x0                        // 
s_cbranch_vccnz label_0268                         // branch to shift d1 r6 mb15 vw0

/******************************************/
/* shift d1 r=7 mb=0                      */
/******************************************/
label_0270: // r7 mb0 
v_cmp_eq_u32 vcc, v131, 0x0                        // 
s_cbranch_vccnz label_0271                         // branch to shift d1 r7 mb0 vw0

/******************************************/
/* shift d1 r=7 mb=1                      */
/******************************************/
label_0272: // r7 mb1 
v_cmp_eq_u32 vcc, v131, 0x0                        // 
s_cbranch_vccnz label_0273                         // branch to shift d1 r7 mb1 vw0

/******************************************/
/* shift d1 r=7 mb=2                      */
/******************************************/
label_0274: // r7 mb2 
v_cmp_eq_u32 vcc, v131, 0x0                        // 
s_cbranch_vccnz label_0275                         // branch to shift d1 r7 mb2 vw0

/******************************************/
/* shift d1 r=7 mb=3                      */
/******************************************/
label_0276: // r7 mb3 
v_cmp_eq_u32 vcc, v131, 0x0                        // 
s_cbranch_vccnz label_0277                         // branch to shift d1 r7 mb3 vw0

/******************************************/
/* shift d1 r=7 mb=4                      */
/******************************************/
label_0278: // r7 mb4 
v_cmp_eq_u32 vcc, v131, 0x0                        // 
s_cbranch_vccnz label_0279                         // branch to shift d1 r7 mb4 vw0

/******************************************/
/* shift d1 r=7 mb=5                      */
/******************************************/
label_0280: // r7 mb5 
v_cmp_eq_u32 vcc, v131, 0x0                        // 
s_cbranch_vccnz label_0281                         // branch to shift d1 r7 mb5 vw0

/******************************************/
/* shift d1 r=7 mb=6                      */
/******************************************/
label_0282: // r7 mb6 
v_cmp_eq_u32 vcc, v131, 0x0                        // 
s_cbranch_vccnz label_0283                         // branch to shift d1 r7 mb6 vw0

/******************************************/
/* shift d1 r=7 mb=7                      */
/******************************************/
label_0284: // r7 mb7 
v_cmp_eq_u32 vcc, v131, 0x0                        // 
s_cbranch_vccnz label_0285                         // branch to shift d1 r7 mb7 vw0

/******************************************/
/* shift d1 r=7 mb=8                      */
/******************************************/
label_0286: // r7 mb8 
v_cmp_eq_u32 vcc, v131, 0x0                        // 
s_cbranch_vccnz label_0287                         // branch to shift d1 r7 mb8 vw0

/******************************************/
/* shift d1 r=7 mb=9                      */
/******************************************/
label_0288: // r7 mb9 
v_cmp_eq_u32 vcc, v131, 0x0                        // 
s_cbranch_vccnz label_0289                         // branch to shift d1 r7 mb9 vw0

/******************************************/
/* shift d1 r=7 mb=10                     */
/******************************************/
label_0290: // r7 mb10 
v_cmp_eq_u32 vcc, v131, 0x0                        // 
s_cbranch_vccnz label_0291                         // branch to shift d1 r7 mb10 vw0

/******************************************/
/* shift d1 r=7 mb=11                     */
/******************************************/
label_0292: // r7 mb11 
v_cmp_eq_u32 vcc, v131, 0x0                        // 
s_cbranch_vccnz label_0293                         // branch to shift d1 r7 mb11 vw0

/******************************************/
/* shift d1 r=7 mb=12                     */
/******************************************/
label_0294: // r7 mb12 
v_cmp_eq_u32 vcc, v131, 0x0                        // 
s_cbranch_vccnz label_0295                         // branch to shift d1 r7 mb12 vw0

/******************************************/
/* shift d1 r=7 mb=13                     */
/******************************************/
label_0296: // r7 mb13 
v_cmp_eq_u32 vcc, v131, 0x0                        // 
s_cbranch_vccnz label_0297                         // branch to shift d1 r7 mb13 vw0

/******************************************/
/* shift d1 r=7 mb=14                     */
/******************************************/
label_0298: // r7 mb14 
v_cmp_eq_u32 vcc, v131, 0x0                        // 
s_cbranch_vccnz label_0299                         // branch to shift d1 r7 mb14 vw0

/******************************************/
/* shift d1 r=7 mb=15                     */
/******************************************/
label_0300: // r7 mb15 
v_cmp_eq_u32 vcc, v131, 0x0                        // 
s_cbranch_vccnz label_0301                         // branch to shift d1 r7 mb15 vw0

/******************************************/
/* shift d1 r=1 mb=0 vw0                  */
/******************************************/
label_0073: // r1 mb0 vw0 
s_mov_b32 s32, 0                                   // 
_v_cmpx_eq_u32 s[32:33], v132, s32                 // is thread in edge glvw region
v_and_b32 v128, 63, v[vgprSerial]                  // permute register between threads
v_lshlrev_b32 v128, 2, v128                        // permute register between threads
v_mov_b32 v133, v3                                 // glvw 1 mb 0 tt1 0 r 0
ds_bpermute_b32 v133, v128, v133, offset:128       // permute edge values
s_waitcnt 0                                        // wait for swizzle operation
v_mov_b32 v0, v133                                 // 
v_mov_b32 v133, v19                                // glvw 1 mb 0 tt1 1 r 0
ds_bpermute_b32 v133, v128, v133, offset:128       // permute edge values
s_waitcnt 0                                        // wait for swizzle operation
v_mov_b32 v16, v133                                // 
s_mov_b64 s[32:33], 0xFFFFFFFFFFFFFFFF             // to restore all threads active
s_or_saveexec_b64 vcc, s[32:33]                    // all threads active
s_branch label_0302                                // done shifting


/******************************************/
/* shift d1 r=1 mb=1 vw0                  */
/******************************************/
label_0075: // r1 mb1 vw0 
s_mov_b32 s32, 1                                   // 
_v_cmpx_eq_u32 s[32:33], v132, s32                 // is thread in edge glvw region
v_and_b32 v128, 63, v[vgprSerial]                  // permute register between threads
v_lshlrev_b32 v128, 2, v128                        // permute register between threads
v_mov_b32 v133, v7                                 // glvw 1 mb 1 tt1 0 r 0
ds_bpermute_b32 v133, v128, v133, offset:128       // permute edge values
s_waitcnt 0                                        // wait for swizzle operation
v_mov_b32 v4, v133                                 // 
v_mov_b32 v133, v23                                // glvw 1 mb 1 tt1 1 r 0
ds_bpermute_b32 v133, v128, v133, offset:128       // permute edge values
s_waitcnt 0                                        // wait for swizzle operation
v_mov_b32 v20, v133                                // 
s_mov_b64 s[32:33], 0xFFFFFFFFFFFFFFFF             // to restore all threads active
s_or_saveexec_b64 vcc, s[32:33]                    // all threads active
s_branch label_0302                                // done shifting


/******************************************/
/* shift d1 r=1 mb=2 vw0                  */
/******************************************/
label_0077: // r1 mb2 vw0 
s_mov_b32 s32, 2                                   // 
_v_cmpx_eq_u32 s[32:33], v132, s32                 // is thread in edge glvw region
v_and_b32 v128, 63, v[vgprSerial]                  // permute register between threads
v_lshlrev_b32 v128, 2, v128                        // permute register between threads
v_mov_b32 v133, v11                                // glvw 1 mb 2 tt1 0 r 0
ds_bpermute_b32 v133, v128, v133, offset:128       // permute edge values
s_waitcnt 0                                        // wait for swizzle operation
v_mov_b32 v8, v133                                 // 
v_mov_b32 v133, v27                                // glvw 1 mb 2 tt1 1 r 0
ds_bpermute_b32 v133, v128, v133, offset:128       // permute edge values
s_waitcnt 0                                        // wait for swizzle operation
v_mov_b32 v24, v133                                // 
s_mov_b64 s[32:33], 0xFFFFFFFFFFFFFFFF             // to restore all threads active
s_or_saveexec_b64 vcc, s[32:33]                    // all threads active
s_branch label_0302                                // done shifting


/******************************************/
/* shift d1 r=1 mb=3 vw0                  */
/******************************************/
label_0079: // r1 mb3 vw0 
s_mov_b32 s32, 3                                   // 
_v_cmpx_eq_u32 s[32:33], v132, s32                 // is thread in edge glvw region
v_and_b32 v128, 63, v[vgprSerial]                  // permute register between threads
v_lshlrev_b32 v128, 2, v128                        // permute register between threads
v_mov_b32 v133, v15                                // glvw 1 mb 3 tt1 0 r 0
ds_bpermute_b32 v133, v128, v133, offset:128       // permute edge values
s_waitcnt 0                                        // wait for swizzle operation
v_mov_b32 v12, v133                                // 
v_mov_b32 v133, v31                                // glvw 1 mb 3 tt1 1 r 0
ds_bpermute_b32 v133, v128, v133, offset:128       // permute edge values
s_waitcnt 0                                        // wait for swizzle operation
v_mov_b32 v28, v133                                // 
s_mov_b64 s[32:33], 0xFFFFFFFFFFFFFFFF             // to restore all threads active
s_or_saveexec_b64 vcc, s[32:33]                    // all threads active
s_branch label_0302                                // done shifting


/******************************************/
/* shift d1 r=1 mb=4 vw0                  */
/******************************************/
label_0081: // r1 mb4 vw0 
s_mov_b32 s32, 4                                   // 
_v_cmpx_eq_u32 s[32:33], v132, s32                 // is thread in edge glvw region
v_and_b32 v128, 63, v[vgprSerial]                  // permute register between threads
v_lshlrev_b32 v128, 2, v128                        // permute register between threads
v_mov_b32 v133, v35                                // glvw 1 mb 4 tt1 0 r 0
ds_bpermute_b32 v133, v128, v133, offset:128       // permute edge values
s_waitcnt 0                                        // wait for swizzle operation
v_mov_b32 v32, v133                                // 
v_mov_b32 v133, v51                                // glvw 1 mb 4 tt1 1 r 0
ds_bpermute_b32 v133, v128, v133, offset:128       // permute edge values
s_waitcnt 0                                        // wait for swizzle operation
v_mov_b32 v48, v133                                // 
s_mov_b64 s[32:33], 0xFFFFFFFFFFFFFFFF             // to restore all threads active
s_or_saveexec_b64 vcc, s[32:33]                    // all threads active
s_branch label_0302                                // done shifting


/******************************************/
/* shift d1 r=1 mb=5 vw0                  */
/******************************************/
label_0083: // r1 mb5 vw0 
s_mov_b32 s32, 5                                   // 
_v_cmpx_eq_u32 s[32:33], v132, s32                 // is thread in edge glvw region
v_and_b32 v128, 63, v[vgprSerial]                  // permute register between threads
v_lshlrev_b32 v128, 2, v128                        // permute register between threads
v_mov_b32 v133, v39                                // glvw 1 mb 5 tt1 0 r 0
ds_bpermute_b32 v133, v128, v133, offset:128       // permute edge values
s_waitcnt 0                                        // wait for swizzle operation
v_mov_b32 v36, v133                                // 
v_mov_b32 v133, v55                                // glvw 1 mb 5 tt1 1 r 0
ds_bpermute_b32 v133, v128, v133, offset:128       // permute edge values
s_waitcnt 0                                        // wait for swizzle operation
v_mov_b32 v52, v133                                // 
s_mov_b64 s[32:33], 0xFFFFFFFFFFFFFFFF             // to restore all threads active
s_or_saveexec_b64 vcc, s[32:33]                    // all threads active
s_branch label_0302                                // done shifting


/******************************************/
/* shift d1 r=1 mb=6 vw0                  */
/******************************************/
label_0085: // r1 mb6 vw0 
s_mov_b32 s32, 6                                   // 
_v_cmpx_eq_u32 s[32:33], v132, s32                 // is thread in edge glvw region
v_and_b32 v128, 63, v[vgprSerial]                  // permute register between threads
v_lshlrev_b32 v128, 2, v128                        // permute register between threads
v_mov_b32 v133, v43                                // glvw 1 mb 6 tt1 0 r 0
ds_bpermute_b32 v133, v128, v133, offset:128       // permute edge values
s_waitcnt 0                                        // wait for swizzle operation
v_mov_b32 v40, v133                                // 
v_mov_b32 v133, v59                                // glvw 1 mb 6 tt1 1 r 0
ds_bpermute_b32 v133, v128, v133, offset:128       // permute edge values
s_waitcnt 0                                        // wait for swizzle operation
v_mov_b32 v56, v133                                // 
s_mov_b64 s[32:33], 0xFFFFFFFFFFFFFFFF             // to restore all threads active
s_or_saveexec_b64 vcc, s[32:33]                    // all threads active
s_branch label_0302                                // done shifting


/******************************************/
/* shift d1 r=1 mb=7 vw0                  */
/******************************************/
label_0087: // r1 mb7 vw0 
s_mov_b32 s32, 7                                   // 
_v_cmpx_eq_u32 s[32:33], v132, s32                 // is thread in edge glvw region
v_and_b32 v128, 63, v[vgprSerial]                  // permute register between threads
v_lshlrev_b32 v128, 2, v128                        // permute register between threads
v_mov_b32 v133, v47                                // glvw 1 mb 7 tt1 0 r 0
ds_bpermute_b32 v133, v128, v133, offset:128       // permute edge values
s_waitcnt 0                                        // wait for swizzle operation
v_mov_b32 v44, v133                                // 
v_mov_b32 v133, v63                                // glvw 1 mb 7 tt1 1 r 0
ds_bpermute_b32 v133, v128, v133, offset:128       // permute edge values
s_waitcnt 0                                        // wait for swizzle operation
v_mov_b32 v60, v133                                // 
s_mov_b64 s[32:33], 0xFFFFFFFFFFFFFFFF             // to restore all threads active
s_or_saveexec_b64 vcc, s[32:33]                    // all threads active
s_branch label_0302                                // done shifting


/******************************************/
/* shift d1 r=1 mb=8 vw0                  */
/******************************************/
label_0089: // r1 mb8 vw0 
s_mov_b32 s32, 8                                   // 
_v_cmpx_eq_u32 s[32:33], v132, s32                 // is thread in edge glvw region
v_and_b32 v128, 63, v[vgprSerial]                  // permute register between threads
v_lshlrev_b32 v128, 2, v128                        // permute register between threads
v_mov_b32 v133, v67                                // glvw 1 mb 8 tt1 0 r 0
ds_bpermute_b32 v133, v128, v133, offset:128       // permute edge values
s_waitcnt 0                                        // wait for swizzle operation
v_mov_b32 v64, v133                                // 
v_mov_b32 v133, v83                                // glvw 1 mb 8 tt1 1 r 0
ds_bpermute_b32 v133, v128, v133, offset:128       // permute edge values
s_waitcnt 0                                        // wait for swizzle operation
v_mov_b32 v80, v133                                // 
s_mov_b64 s[32:33], 0xFFFFFFFFFFFFFFFF             // to restore all threads active
s_or_saveexec_b64 vcc, s[32:33]                    // all threads active
s_branch label_0302                                // done shifting


/******************************************/
/* shift d1 r=1 mb=9 vw0                  */
/******************************************/
label_0091: // r1 mb9 vw0 
s_mov_b32 s32, 9                                   // 
_v_cmpx_eq_u32 s[32:33], v132, s32                 // is thread in edge glvw region
v_and_b32 v128, 63, v[vgprSerial]                  // permute register between threads
v_lshlrev_b32 v128, 2, v128                        // permute register between threads
v_mov_b32 v133, v71                                // glvw 1 mb 9 tt1 0 r 0
ds_bpermute_b32 v133, v128, v133, offset:128       // permute edge values
s_waitcnt 0                                        // wait for swizzle operation
v_mov_b32 v68, v133                                // 
v_mov_b32 v133, v87                                // glvw 1 mb 9 tt1 1 r 0
ds_bpermute_b32 v133, v128, v133, offset:128       // permute edge values
s_waitcnt 0                                        // wait for swizzle operation
v_mov_b32 v84, v133                                // 
s_mov_b64 s[32:33], 0xFFFFFFFFFFFFFFFF             // to restore all threads active
s_or_saveexec_b64 vcc, s[32:33]                    // all threads active
s_branch label_0302                                // done shifting


/******************************************/
/* shift d1 r=1 mb=10 vw0                 */
/******************************************/
label_0093: // r1 mb10 vw0 
s_mov_b32 s32, 10                                  // 
_v_cmpx_eq_u32 s[32:33], v132, s32                 // is thread in edge glvw region
v_and_b32 v128, 63, v[vgprSerial]                  // permute register between threads
v_lshlrev_b32 v128, 2, v128                        // permute register between threads
v_mov_b32 v133, v75                                // glvw 1 mb 10 tt1 0 r 0
ds_bpermute_b32 v133, v128, v133, offset:128       // permute edge values
s_waitcnt 0                                        // wait for swizzle operation
v_mov_b32 v72, v133                                // 
v_mov_b32 v133, v91                                // glvw 1 mb 10 tt1 1 r 0
ds_bpermute_b32 v133, v128, v133, offset:128       // permute edge values
s_waitcnt 0                                        // wait for swizzle operation
v_mov_b32 v88, v133                                // 
s_mov_b64 s[32:33], 0xFFFFFFFFFFFFFFFF             // to restore all threads active
s_or_saveexec_b64 vcc, s[32:33]                    // all threads active
s_branch label_0302                                // done shifting


/******************************************/
/* shift d1 r=1 mb=11 vw0                 */
/******************************************/
label_0095: // r1 mb11 vw0 
s_mov_b32 s32, 11                                  // 
_v_cmpx_eq_u32 s[32:33], v132, s32                 // is thread in edge glvw region
v_and_b32 v128, 63, v[vgprSerial]                  // permute register between threads
v_lshlrev_b32 v128, 2, v128                        // permute register between threads
v_mov_b32 v133, v79                                // glvw 1 mb 11 tt1 0 r 0
ds_bpermute_b32 v133, v128, v133, offset:128       // permute edge values
s_waitcnt 0                                        // wait for swizzle operation
v_mov_b32 v76, v133                                // 
v_mov_b32 v133, v95                                // glvw 1 mb 11 tt1 1 r 0
ds_bpermute_b32 v133, v128, v133, offset:128       // permute edge values
s_waitcnt 0                                        // wait for swizzle operation
v_mov_b32 v92, v133                                // 
s_mov_b64 s[32:33], 0xFFFFFFFFFFFFFFFF             // to restore all threads active
s_or_saveexec_b64 vcc, s[32:33]                    // all threads active
s_branch label_0302                                // done shifting


/******************************************/
/* shift d1 r=1 mb=12 vw0                 */
/******************************************/
label_0097: // r1 mb12 vw0 
s_mov_b32 s32, 12                                  // 
_v_cmpx_eq_u32 s[32:33], v132, s32                 // is thread in edge glvw region
v_and_b32 v128, 63, v[vgprSerial]                  // permute register between threads
v_lshlrev_b32 v128, 2, v128                        // permute register between threads
v_mov_b32 v133, v99                                // glvw 1 mb 12 tt1 0 r 0
ds_bpermute_b32 v133, v128, v133, offset:128       // permute edge values
s_waitcnt 0                                        // wait for swizzle operation
v_mov_b32 v96, v133                                // 
v_mov_b32 v133, v115                               // glvw 1 mb 12 tt1 1 r 0
ds_bpermute_b32 v133, v128, v133, offset:128       // permute edge values
s_waitcnt 0                                        // wait for swizzle operation
v_mov_b32 v112, v133                               // 
s_mov_b64 s[32:33], 0xFFFFFFFFFFFFFFFF             // to restore all threads active
s_or_saveexec_b64 vcc, s[32:33]                    // all threads active
s_branch label_0302                                // done shifting


/******************************************/
/* shift d1 r=1 mb=13 vw0                 */
/******************************************/
label_0099: // r1 mb13 vw0 
s_mov_b32 s32, 13                                  // 
_v_cmpx_eq_u32 s[32:33], v132, s32                 // is thread in edge glvw region
v_and_b32 v128, 63, v[vgprSerial]                  // permute register between threads
v_lshlrev_b32 v128, 2, v128                        // permute register between threads
v_mov_b32 v133, v103                               // glvw 1 mb 13 tt1 0 r 0
ds_bpermute_b32 v133, v128, v133, offset:128       // permute edge values
s_waitcnt 0                                        // wait for swizzle operation
v_mov_b32 v100, v133                               // 
v_mov_b32 v133, v119                               // glvw 1 mb 13 tt1 1 r 0
ds_bpermute_b32 v133, v128, v133, offset:128       // permute edge values
s_waitcnt 0                                        // wait for swizzle operation
v_mov_b32 v116, v133                               // 
s_mov_b64 s[32:33], 0xFFFFFFFFFFFFFFFF             // to restore all threads active
s_or_saveexec_b64 vcc, s[32:33]                    // all threads active
s_branch label_0302                                // done shifting


/******************************************/
/* shift d1 r=1 mb=14 vw0                 */
/******************************************/
label_0101: // r1 mb14 vw0 
s_mov_b32 s32, 14                                  // 
_v_cmpx_eq_u32 s[32:33], v132, s32                 // is thread in edge glvw region
v_and_b32 v128, 63, v[vgprSerial]                  // permute register between threads
v_lshlrev_b32 v128, 2, v128                        // permute register between threads
v_mov_b32 v133, v107                               // glvw 1 mb 14 tt1 0 r 0
ds_bpermute_b32 v133, v128, v133, offset:128       // permute edge values
s_waitcnt 0                                        // wait for swizzle operation
v_mov_b32 v104, v133                               // 
v_mov_b32 v133, v123                               // glvw 1 mb 14 tt1 1 r 0
ds_bpermute_b32 v133, v128, v133, offset:128       // permute edge values
s_waitcnt 0                                        // wait for swizzle operation
v_mov_b32 v120, v133                               // 
s_mov_b64 s[32:33], 0xFFFFFFFFFFFFFFFF             // to restore all threads active
s_or_saveexec_b64 vcc, s[32:33]                    // all threads active
s_branch label_0302                                // done shifting


/******************************************/
/* shift d1 r=1 mb=15 vw0                 */
/******************************************/
label_0103: // r1 mb15 vw0 
s_mov_b32 s32, 15                                  // 
_v_cmpx_eq_u32 s[32:33], v132, s32                 // is thread in edge glvw region
v_and_b32 v128, 63, v[vgprSerial]                  // permute register between threads
v_lshlrev_b32 v128, 2, v128                        // permute register between threads
v_mov_b32 v133, v111                               // glvw 1 mb 15 tt1 0 r 0
ds_bpermute_b32 v133, v128, v133, offset:128       // permute edge values
s_waitcnt 0                                        // wait for swizzle operation
v_mov_b32 v108, v133                               // 
v_mov_b32 v133, v127                               // glvw 1 mb 15 tt1 1 r 0
ds_bpermute_b32 v133, v128, v133, offset:128       // permute edge values
s_waitcnt 0                                        // wait for swizzle operation
v_mov_b32 v124, v133                               // 
s_mov_b64 s[32:33], 0xFFFFFFFFFFFFFFFF             // to restore all threads active
s_or_saveexec_b64 vcc, s[32:33]                    // all threads active
s_branch label_0302                                // done shifting


/******************************************/
/* shift d1 r=2 mb=0 vw0                  */
/******************************************/
label_0106: // r2 mb0 vw0 
s_mov_b32 s32, 0                                   // 
_v_cmpx_eq_u32 s[32:33], v132, s32                 // is thread in edge glvw region
v_and_b32 v128, 63, v[vgprSerial]                  // permute register between threads
v_lshlrev_b32 v128, 2, v128                        // permute register between threads
v_mov_b32 v133, v2                                 // glvw 2 mb 0 tt1 0 r 0
v_mov_b32 v134, v3                                 // glvw 2 mb 0 tt1 0 r 0
ds_bpermute_b32 v133, v128, v133, offset:128       // permute edge values
ds_bpermute_b32 v134, v128, v134, offset:128       // permute edge values
s_waitcnt 0                                        // wait for swizzle operation
v_mov_b32 v0, v133                                 // 
v_mov_b32 v1, v134                                 // 
v_mov_b32 v133, v18                                // glvw 2 mb 0 tt1 1 r 0
v_mov_b32 v134, v19                                // glvw 2 mb 0 tt1 1 r 0
ds_bpermute_b32 v133, v128, v133, offset:128       // permute edge values
ds_bpermute_b32 v134, v128, v134, offset:128       // permute edge values
s_waitcnt 0                                        // wait for swizzle operation
v_mov_b32 v16, v133                                // 
v_mov_b32 v17, v134                                // 
s_mov_b64 s[32:33], 0xFFFFFFFFFFFFFFFF             // to restore all threads active
s_or_saveexec_b64 vcc, s[32:33]                    // all threads active
s_branch label_0302                                // done shifting


/******************************************/
/* shift d1 r=2 mb=1 vw0                  */
/******************************************/
label_0108: // r2 mb1 vw0 
s_mov_b32 s32, 1                                   // 
_v_cmpx_eq_u32 s[32:33], v132, s32                 // is thread in edge glvw region
v_and_b32 v128, 63, v[vgprSerial]                  // permute register between threads
v_lshlrev_b32 v128, 2, v128                        // permute register between threads
v_mov_b32 v133, v6                                 // glvw 2 mb 1 tt1 0 r 0
v_mov_b32 v134, v7                                 // glvw 2 mb 1 tt1 0 r 0
ds_bpermute_b32 v133, v128, v133, offset:128       // permute edge values
ds_bpermute_b32 v134, v128, v134, offset:128       // permute edge values
s_waitcnt 0                                        // wait for swizzle operation
v_mov_b32 v4, v133                                 // 
v_mov_b32 v5, v134                                 // 
v_mov_b32 v133, v22                                // glvw 2 mb 1 tt1 1 r 0
v_mov_b32 v134, v23                                // glvw 2 mb 1 tt1 1 r 0
ds_bpermute_b32 v133, v128, v133, offset:128       // permute edge values
ds_bpermute_b32 v134, v128, v134, offset:128       // permute edge values
s_waitcnt 0                                        // wait for swizzle operation
v_mov_b32 v20, v133                                // 
v_mov_b32 v21, v134                                // 
s_mov_b64 s[32:33], 0xFFFFFFFFFFFFFFFF             // to restore all threads active
s_or_saveexec_b64 vcc, s[32:33]                    // all threads active
s_branch label_0302                                // done shifting


/******************************************/
/* shift d1 r=2 mb=2 vw0                  */
/******************************************/
label_0110: // r2 mb2 vw0 
s_mov_b32 s32, 2                                   // 
_v_cmpx_eq_u32 s[32:33], v132, s32                 // is thread in edge glvw region
v_and_b32 v128, 63, v[vgprSerial]                  // permute register between threads
v_lshlrev_b32 v128, 2, v128                        // permute register between threads
v_mov_b32 v133, v10                                // glvw 2 mb 2 tt1 0 r 0
v_mov_b32 v134, v11                                // glvw 2 mb 2 tt1 0 r 0
ds_bpermute_b32 v133, v128, v133, offset:128       // permute edge values
ds_bpermute_b32 v134, v128, v134, offset:128       // permute edge values
s_waitcnt 0                                        // wait for swizzle operation
v_mov_b32 v8, v133                                 // 
v_mov_b32 v9, v134                                 // 
v_mov_b32 v133, v26                                // glvw 2 mb 2 tt1 1 r 0
v_mov_b32 v134, v27                                // glvw 2 mb 2 tt1 1 r 0
ds_bpermute_b32 v133, v128, v133, offset:128       // permute edge values
ds_bpermute_b32 v134, v128, v134, offset:128       // permute edge values
s_waitcnt 0                                        // wait for swizzle operation
v_mov_b32 v24, v133                                // 
v_mov_b32 v25, v134                                // 
s_mov_b64 s[32:33], 0xFFFFFFFFFFFFFFFF             // to restore all threads active
s_or_saveexec_b64 vcc, s[32:33]                    // all threads active
s_branch label_0302                                // done shifting


/******************************************/
/* shift d1 r=2 mb=3 vw0                  */
/******************************************/
label_0112: // r2 mb3 vw0 
s_mov_b32 s32, 3                                   // 
_v_cmpx_eq_u32 s[32:33], v132, s32                 // is thread in edge glvw region
v_and_b32 v128, 63, v[vgprSerial]                  // permute register between threads
v_lshlrev_b32 v128, 2, v128                        // permute register between threads
v_mov_b32 v133, v14                                // glvw 2 mb 3 tt1 0 r 0
v_mov_b32 v134, v15                                // glvw 2 mb 3 tt1 0 r 0
ds_bpermute_b32 v133, v128, v133, offset:128       // permute edge values
ds_bpermute_b32 v134, v128, v134, offset:128       // permute edge values
s_waitcnt 0                                        // wait for swizzle operation
v_mov_b32 v12, v133                                // 
v_mov_b32 v13, v134                                // 
v_mov_b32 v133, v30                                // glvw 2 mb 3 tt1 1 r 0
v_mov_b32 v134, v31                                // glvw 2 mb 3 tt1 1 r 0
ds_bpermute_b32 v133, v128, v133, offset:128       // permute edge values
ds_bpermute_b32 v134, v128, v134, offset:128       // permute edge values
s_waitcnt 0                                        // wait for swizzle operation
v_mov_b32 v28, v133                                // 
v_mov_b32 v29, v134                                // 
s_mov_b64 s[32:33], 0xFFFFFFFFFFFFFFFF             // to restore all threads active
s_or_saveexec_b64 vcc, s[32:33]                    // all threads active
s_branch label_0302                                // done shifting


/******************************************/
/* shift d1 r=2 mb=4 vw0                  */
/******************************************/
label_0114: // r2 mb4 vw0 
s_mov_b32 s32, 4                                   // 
_v_cmpx_eq_u32 s[32:33], v132, s32                 // is thread in edge glvw region
v_and_b32 v128, 63, v[vgprSerial]                  // permute register between threads
v_lshlrev_b32 v128, 2, v128                        // permute register between threads
v_mov_b32 v133, v34                                // glvw 2 mb 4 tt1 0 r 0
v_mov_b32 v134, v35                                // glvw 2 mb 4 tt1 0 r 0
ds_bpermute_b32 v133, v128, v133, offset:128       // permute edge values
ds_bpermute_b32 v134, v128, v134, offset:128       // permute edge values
s_waitcnt 0                                        // wait for swizzle operation
v_mov_b32 v32, v133                                // 
v_mov_b32 v33, v134                                // 
v_mov_b32 v133, v50                                // glvw 2 mb 4 tt1 1 r 0
v_mov_b32 v134, v51                                // glvw 2 mb 4 tt1 1 r 0
ds_bpermute_b32 v133, v128, v133, offset:128       // permute edge values
ds_bpermute_b32 v134, v128, v134, offset:128       // permute edge values
s_waitcnt 0                                        // wait for swizzle operation
v_mov_b32 v48, v133                                // 
v_mov_b32 v49, v134                                // 
s_mov_b64 s[32:33], 0xFFFFFFFFFFFFFFFF             // to restore all threads active
s_or_saveexec_b64 vcc, s[32:33]                    // all threads active
s_branch label_0302                                // done shifting


/******************************************/
/* shift d1 r=2 mb=5 vw0                  */
/******************************************/
label_0116: // r2 mb5 vw0 
s_mov_b32 s32, 5                                   // 
_v_cmpx_eq_u32 s[32:33], v132, s32                 // is thread in edge glvw region
v_and_b32 v128, 63, v[vgprSerial]                  // permute register between threads
v_lshlrev_b32 v128, 2, v128                        // permute register between threads
v_mov_b32 v133, v38                                // glvw 2 mb 5 tt1 0 r 0
v_mov_b32 v134, v39                                // glvw 2 mb 5 tt1 0 r 0
ds_bpermute_b32 v133, v128, v133, offset:128       // permute edge values
ds_bpermute_b32 v134, v128, v134, offset:128       // permute edge values
s_waitcnt 0                                        // wait for swizzle operation
v_mov_b32 v36, v133                                // 
v_mov_b32 v37, v134                                // 
v_mov_b32 v133, v54                                // glvw 2 mb 5 tt1 1 r 0
v_mov_b32 v134, v55                                // glvw 2 mb 5 tt1 1 r 0
ds_bpermute_b32 v133, v128, v133, offset:128       // permute edge values
ds_bpermute_b32 v134, v128, v134, offset:128       // permute edge values
s_waitcnt 0                                        // wait for swizzle operation
v_mov_b32 v52, v133                                // 
v_mov_b32 v53, v134                                // 
s_mov_b64 s[32:33], 0xFFFFFFFFFFFFFFFF             // to restore all threads active
s_or_saveexec_b64 vcc, s[32:33]                    // all threads active
s_branch label_0302                                // done shifting


/******************************************/
/* shift d1 r=2 mb=6 vw0                  */
/******************************************/
label_0118: // r2 mb6 vw0 
s_mov_b32 s32, 6                                   // 
_v_cmpx_eq_u32 s[32:33], v132, s32                 // is thread in edge glvw region
v_and_b32 v128, 63, v[vgprSerial]                  // permute register between threads
v_lshlrev_b32 v128, 2, v128                        // permute register between threads
v_mov_b32 v133, v42                                // glvw 2 mb 6 tt1 0 r 0
v_mov_b32 v134, v43                                // glvw 2 mb 6 tt1 0 r 0
ds_bpermute_b32 v133, v128, v133, offset:128       // permute edge values
ds_bpermute_b32 v134, v128, v134, offset:128       // permute edge values
s_waitcnt 0                                        // wait for swizzle operation
v_mov_b32 v40, v133                                // 
v_mov_b32 v41, v134                                // 
v_mov_b32 v133, v58                                // glvw 2 mb 6 tt1 1 r 0
v_mov_b32 v134, v59                                // glvw 2 mb 6 tt1 1 r 0
ds_bpermute_b32 v133, v128, v133, offset:128       // permute edge values
ds_bpermute_b32 v134, v128, v134, offset:128       // permute edge values
s_waitcnt 0                                        // wait for swizzle operation
v_mov_b32 v56, v133                                // 
v_mov_b32 v57, v134                                // 
s_mov_b64 s[32:33], 0xFFFFFFFFFFFFFFFF             // to restore all threads active
s_or_saveexec_b64 vcc, s[32:33]                    // all threads active
s_branch label_0302                                // done shifting


/******************************************/
/* shift d1 r=2 mb=7 vw0                  */
/******************************************/
label_0120: // r2 mb7 vw0 
s_mov_b32 s32, 7                                   // 
_v_cmpx_eq_u32 s[32:33], v132, s32                 // is thread in edge glvw region
v_and_b32 v128, 63, v[vgprSerial]                  // permute register between threads
v_lshlrev_b32 v128, 2, v128                        // permute register between threads
v_mov_b32 v133, v46                                // glvw 2 mb 7 tt1 0 r 0
v_mov_b32 v134, v47                                // glvw 2 mb 7 tt1 0 r 0
ds_bpermute_b32 v133, v128, v133, offset:128       // permute edge values
ds_bpermute_b32 v134, v128, v134, offset:128       // permute edge values
s_waitcnt 0                                        // wait for swizzle operation
v_mov_b32 v44, v133                                // 
v_mov_b32 v45, v134                                // 
v_mov_b32 v133, v62                                // glvw 2 mb 7 tt1 1 r 0
v_mov_b32 v134, v63                                // glvw 2 mb 7 tt1 1 r 0
ds_bpermute_b32 v133, v128, v133, offset:128       // permute edge values
ds_bpermute_b32 v134, v128, v134, offset:128       // permute edge values
s_waitcnt 0                                        // wait for swizzle operation
v_mov_b32 v60, v133                                // 
v_mov_b32 v61, v134                                // 
s_mov_b64 s[32:33], 0xFFFFFFFFFFFFFFFF             // to restore all threads active
s_or_saveexec_b64 vcc, s[32:33]                    // all threads active
s_branch label_0302                                // done shifting


/******************************************/
/* shift d1 r=2 mb=8 vw0                  */
/******************************************/
label_0122: // r2 mb8 vw0 
s_mov_b32 s32, 8                                   // 
_v_cmpx_eq_u32 s[32:33], v132, s32                 // is thread in edge glvw region
v_and_b32 v128, 63, v[vgprSerial]                  // permute register between threads
v_lshlrev_b32 v128, 2, v128                        // permute register between threads
v_mov_b32 v133, v66                                // glvw 2 mb 8 tt1 0 r 0
v_mov_b32 v134, v67                                // glvw 2 mb 8 tt1 0 r 0
ds_bpermute_b32 v133, v128, v133, offset:128       // permute edge values
ds_bpermute_b32 v134, v128, v134, offset:128       // permute edge values
s_waitcnt 0                                        // wait for swizzle operation
v_mov_b32 v64, v133                                // 
v_mov_b32 v65, v134                                // 
v_mov_b32 v133, v82                                // glvw 2 mb 8 tt1 1 r 0
v_mov_b32 v134, v83                                // glvw 2 mb 8 tt1 1 r 0
ds_bpermute_b32 v133, v128, v133, offset:128       // permute edge values
ds_bpermute_b32 v134, v128, v134, offset:128       // permute edge values
s_waitcnt 0                                        // wait for swizzle operation
v_mov_b32 v80, v133                                // 
v_mov_b32 v81, v134                                // 
s_mov_b64 s[32:33], 0xFFFFFFFFFFFFFFFF             // to restore all threads active
s_or_saveexec_b64 vcc, s[32:33]                    // all threads active
s_branch label_0302                                // done shifting


/******************************************/
/* shift d1 r=2 mb=9 vw0                  */
/******************************************/
label_0124: // r2 mb9 vw0 
s_mov_b32 s32, 9                                   // 
_v_cmpx_eq_u32 s[32:33], v132, s32                 // is thread in edge glvw region
v_and_b32 v128, 63, v[vgprSerial]                  // permute register between threads
v_lshlrev_b32 v128, 2, v128                        // permute register between threads
v_mov_b32 v133, v70                                // glvw 2 mb 9 tt1 0 r 0
v_mov_b32 v134, v71                                // glvw 2 mb 9 tt1 0 r 0
ds_bpermute_b32 v133, v128, v133, offset:128       // permute edge values
ds_bpermute_b32 v134, v128, v134, offset:128       // permute edge values
s_waitcnt 0                                        // wait for swizzle operation
v_mov_b32 v68, v133                                // 
v_mov_b32 v69, v134                                // 
v_mov_b32 v133, v86                                // glvw 2 mb 9 tt1 1 r 0
v_mov_b32 v134, v87                                // glvw 2 mb 9 tt1 1 r 0
ds_bpermute_b32 v133, v128, v133, offset:128       // permute edge values
ds_bpermute_b32 v134, v128, v134, offset:128       // permute edge values
s_waitcnt 0                                        // wait for swizzle operation
v_mov_b32 v84, v133                                // 
v_mov_b32 v85, v134                                // 
s_mov_b64 s[32:33], 0xFFFFFFFFFFFFFFFF             // to restore all threads active
s_or_saveexec_b64 vcc, s[32:33]                    // all threads active
s_branch label_0302                                // done shifting


/******************************************/
/* shift d1 r=2 mb=10 vw0                 */
/******************************************/
label_0126: // r2 mb10 vw0 
s_mov_b32 s32, 10                                  // 
_v_cmpx_eq_u32 s[32:33], v132, s32                 // is thread in edge glvw region
v_and_b32 v128, 63, v[vgprSerial]                  // permute register between threads
v_lshlrev_b32 v128, 2, v128                        // permute register between threads
v_mov_b32 v133, v74                                // glvw 2 mb 10 tt1 0 r 0
v_mov_b32 v134, v75                                // glvw 2 mb 10 tt1 0 r 0
ds_bpermute_b32 v133, v128, v133, offset:128       // permute edge values
ds_bpermute_b32 v134, v128, v134, offset:128       // permute edge values
s_waitcnt 0                                        // wait for swizzle operation
v_mov_b32 v72, v133                                // 
v_mov_b32 v73, v134                                // 
v_mov_b32 v133, v90                                // glvw 2 mb 10 tt1 1 r 0
v_mov_b32 v134, v91                                // glvw 2 mb 10 tt1 1 r 0
ds_bpermute_b32 v133, v128, v133, offset:128       // permute edge values
ds_bpermute_b32 v134, v128, v134, offset:128       // permute edge values
s_waitcnt 0                                        // wait for swizzle operation
v_mov_b32 v88, v133                                // 
v_mov_b32 v89, v134                                // 
s_mov_b64 s[32:33], 0xFFFFFFFFFFFFFFFF             // to restore all threads active
s_or_saveexec_b64 vcc, s[32:33]                    // all threads active
s_branch label_0302                                // done shifting


/******************************************/
/* shift d1 r=2 mb=11 vw0                 */
/******************************************/
label_0128: // r2 mb11 vw0 
s_mov_b32 s32, 11                                  // 
_v_cmpx_eq_u32 s[32:33], v132, s32                 // is thread in edge glvw region
v_and_b32 v128, 63, v[vgprSerial]                  // permute register between threads
v_lshlrev_b32 v128, 2, v128                        // permute register between threads
v_mov_b32 v133, v78                                // glvw 2 mb 11 tt1 0 r 0
v_mov_b32 v134, v79                                // glvw 2 mb 11 tt1 0 r 0
ds_bpermute_b32 v133, v128, v133, offset:128       // permute edge values
ds_bpermute_b32 v134, v128, v134, offset:128       // permute edge values
s_waitcnt 0                                        // wait for swizzle operation
v_mov_b32 v76, v133                                // 
v_mov_b32 v77, v134                                // 
v_mov_b32 v133, v94                                // glvw 2 mb 11 tt1 1 r 0
v_mov_b32 v134, v95                                // glvw 2 mb 11 tt1 1 r 0
ds_bpermute_b32 v133, v128, v133, offset:128       // permute edge values
ds_bpermute_b32 v134, v128, v134, offset:128       // permute edge values
s_waitcnt 0                                        // wait for swizzle operation
v_mov_b32 v92, v133                                // 
v_mov_b32 v93, v134                                // 
s_mov_b64 s[32:33], 0xFFFFFFFFFFFFFFFF             // to restore all threads active
s_or_saveexec_b64 vcc, s[32:33]                    // all threads active
s_branch label_0302                                // done shifting


/******************************************/
/* shift d1 r=2 mb=12 vw0                 */
/******************************************/
label_0130: // r2 mb12 vw0 
s_mov_b32 s32, 12                                  // 
_v_cmpx_eq_u32 s[32:33], v132, s32                 // is thread in edge glvw region
v_and_b32 v128, 63, v[vgprSerial]                  // permute register between threads
v_lshlrev_b32 v128, 2, v128                        // permute register between threads
v_mov_b32 v133, v98                                // glvw 2 mb 12 tt1 0 r 0
v_mov_b32 v134, v99                                // glvw 2 mb 12 tt1 0 r 0
ds_bpermute_b32 v133, v128, v133, offset:128       // permute edge values
ds_bpermute_b32 v134, v128, v134, offset:128       // permute edge values
s_waitcnt 0                                        // wait for swizzle operation
v_mov_b32 v96, v133                                // 
v_mov_b32 v97, v134                                // 
v_mov_b32 v133, v114                               // glvw 2 mb 12 tt1 1 r 0
v_mov_b32 v134, v115                               // glvw 2 mb 12 tt1 1 r 0
ds_bpermute_b32 v133, v128, v133, offset:128       // permute edge values
ds_bpermute_b32 v134, v128, v134, offset:128       // permute edge values
s_waitcnt 0                                        // wait for swizzle operation
v_mov_b32 v112, v133                               // 
v_mov_b32 v113, v134                               // 
s_mov_b64 s[32:33], 0xFFFFFFFFFFFFFFFF             // to restore all threads active
s_or_saveexec_b64 vcc, s[32:33]                    // all threads active
s_branch label_0302                                // done shifting


/******************************************/
/* shift d1 r=2 mb=13 vw0                 */
/******************************************/
label_0132: // r2 mb13 vw0 
s_mov_b32 s32, 13                                  // 
_v_cmpx_eq_u32 s[32:33], v132, s32                 // is thread in edge glvw region
v_and_b32 v128, 63, v[vgprSerial]                  // permute register between threads
v_lshlrev_b32 v128, 2, v128                        // permute register between threads
v_mov_b32 v133, v102                               // glvw 2 mb 13 tt1 0 r 0
v_mov_b32 v134, v103                               // glvw 2 mb 13 tt1 0 r 0
ds_bpermute_b32 v133, v128, v133, offset:128       // permute edge values
ds_bpermute_b32 v134, v128, v134, offset:128       // permute edge values
s_waitcnt 0                                        // wait for swizzle operation
v_mov_b32 v100, v133                               // 
v_mov_b32 v101, v134                               // 
v_mov_b32 v133, v118                               // glvw 2 mb 13 tt1 1 r 0
v_mov_b32 v134, v119                               // glvw 2 mb 13 tt1 1 r 0
ds_bpermute_b32 v133, v128, v133, offset:128       // permute edge values
ds_bpermute_b32 v134, v128, v134, offset:128       // permute edge values
s_waitcnt 0                                        // wait for swizzle operation
v_mov_b32 v116, v133                               // 
v_mov_b32 v117, v134                               // 
s_mov_b64 s[32:33], 0xFFFFFFFFFFFFFFFF             // to restore all threads active
s_or_saveexec_b64 vcc, s[32:33]                    // all threads active
s_branch label_0302                                // done shifting


/******************************************/
/* shift d1 r=2 mb=14 vw0                 */
/******************************************/
label_0134: // r2 mb14 vw0 
s_mov_b32 s32, 14                                  // 
_v_cmpx_eq_u32 s[32:33], v132, s32                 // is thread in edge glvw region
v_and_b32 v128, 63, v[vgprSerial]                  // permute register between threads
v_lshlrev_b32 v128, 2, v128                        // permute register between threads
v_mov_b32 v133, v106                               // glvw 2 mb 14 tt1 0 r 0
v_mov_b32 v134, v107                               // glvw 2 mb 14 tt1 0 r 0
ds_bpermute_b32 v133, v128, v133, offset:128       // permute edge values
ds_bpermute_b32 v134, v128, v134, offset:128       // permute edge values
s_waitcnt 0                                        // wait for swizzle operation
v_mov_b32 v104, v133                               // 
v_mov_b32 v105, v134                               // 
v_mov_b32 v133, v122                               // glvw 2 mb 14 tt1 1 r 0
v_mov_b32 v134, v123                               // glvw 2 mb 14 tt1 1 r 0
ds_bpermute_b32 v133, v128, v133, offset:128       // permute edge values
ds_bpermute_b32 v134, v128, v134, offset:128       // permute edge values
s_waitcnt 0                                        // wait for swizzle operation
v_mov_b32 v120, v133                               // 
v_mov_b32 v121, v134                               // 
s_mov_b64 s[32:33], 0xFFFFFFFFFFFFFFFF             // to restore all threads active
s_or_saveexec_b64 vcc, s[32:33]                    // all threads active
s_branch label_0302                                // done shifting


/******************************************/
/* shift d1 r=2 mb=15 vw0                 */
/******************************************/
label_0136: // r2 mb15 vw0 
s_mov_b32 s32, 15                                  // 
_v_cmpx_eq_u32 s[32:33], v132, s32                 // is thread in edge glvw region
v_and_b32 v128, 63, v[vgprSerial]                  // permute register between threads
v_lshlrev_b32 v128, 2, v128                        // permute register between threads
v_mov_b32 v133, v110                               // glvw 2 mb 15 tt1 0 r 0
v_mov_b32 v134, v111                               // glvw 2 mb 15 tt1 0 r 0
ds_bpermute_b32 v133, v128, v133, offset:128       // permute edge values
ds_bpermute_b32 v134, v128, v134, offset:128       // permute edge values
s_waitcnt 0                                        // wait for swizzle operation
v_mov_b32 v108, v133                               // 
v_mov_b32 v109, v134                               // 
v_mov_b32 v133, v126                               // glvw 2 mb 15 tt1 1 r 0
v_mov_b32 v134, v127                               // glvw 2 mb 15 tt1 1 r 0
ds_bpermute_b32 v133, v128, v133, offset:128       // permute edge values
ds_bpermute_b32 v134, v128, v134, offset:128       // permute edge values
s_waitcnt 0                                        // wait for swizzle operation
v_mov_b32 v124, v133                               // 
v_mov_b32 v125, v134                               // 
s_mov_b64 s[32:33], 0xFFFFFFFFFFFFFFFF             // to restore all threads active
s_or_saveexec_b64 vcc, s[32:33]                    // all threads active
s_branch label_0302                                // done shifting


/******************************************/
/* shift d1 r=3 mb=0 vw0                  */
/******************************************/
label_0139: // r3 mb0 vw0 
s_mov_b32 s32, 0                                   // 
_v_cmpx_eq_u32 s[32:33], v132, s32                 // is thread in edge glvw region
v_and_b32 v128, 63, v[vgprSerial]                  // permute register between threads
v_lshlrev_b32 v128, 2, v128                        // permute register between threads
v_mov_b32 v133, v1                                 // glvw 3 mb 0 tt1 0 r 0
v_mov_b32 v134, v2                                 // glvw 3 mb 0 tt1 0 r 0
	;; [unrolled: 1-line block ×3, first 2 shown]
ds_bpermute_b32 v133, v128, v133, offset:128       // permute edge values
ds_bpermute_b32 v134, v128, v134, offset:128       // permute edge values
	;; [unrolled: 1-line block ×3, first 2 shown]
s_waitcnt 0                                        // wait for swizzle operation
v_mov_b32 v0, v133                                 // 
v_mov_b32 v1, v134                                 // 
v_mov_b32 v2, v135                                 // 
v_mov_b32 v133, v17                                // glvw 3 mb 0 tt1 1 r 0
v_mov_b32 v134, v18                                // glvw 3 mb 0 tt1 1 r 0
	;; [unrolled: 1-line block ×3, first 2 shown]
ds_bpermute_b32 v133, v128, v133, offset:128       // permute edge values
ds_bpermute_b32 v134, v128, v134, offset:128       // permute edge values
	;; [unrolled: 1-line block ×3, first 2 shown]
s_waitcnt 0                                        // wait for swizzle operation
v_mov_b32 v16, v133                                // 
v_mov_b32 v17, v134                                // 
	;; [unrolled: 1-line block ×3, first 2 shown]
s_mov_b64 s[32:33], 0xFFFFFFFFFFFFFFFF             // to restore all threads active
s_or_saveexec_b64 vcc, s[32:33]                    // all threads active
s_branch label_0302                                // done shifting


/******************************************/
/* shift d1 r=3 mb=1 vw0                  */
/******************************************/
label_0141: // r3 mb1 vw0 
s_mov_b32 s32, 1                                   // 
_v_cmpx_eq_u32 s[32:33], v132, s32                 // is thread in edge glvw region
v_and_b32 v128, 63, v[vgprSerial]                  // permute register between threads
v_lshlrev_b32 v128, 2, v128                        // permute register between threads
v_mov_b32 v133, v5                                 // glvw 3 mb 1 tt1 0 r 0
v_mov_b32 v134, v6                                 // glvw 3 mb 1 tt1 0 r 0
	;; [unrolled: 1-line block ×3, first 2 shown]
ds_bpermute_b32 v133, v128, v133, offset:128       // permute edge values
ds_bpermute_b32 v134, v128, v134, offset:128       // permute edge values
	;; [unrolled: 1-line block ×3, first 2 shown]
s_waitcnt 0                                        // wait for swizzle operation
v_mov_b32 v4, v133                                 // 
v_mov_b32 v5, v134                                 // 
	;; [unrolled: 1-line block ×3, first 2 shown]
v_mov_b32 v133, v21                                // glvw 3 mb 1 tt1 1 r 0
v_mov_b32 v134, v22                                // glvw 3 mb 1 tt1 1 r 0
	;; [unrolled: 1-line block ×3, first 2 shown]
ds_bpermute_b32 v133, v128, v133, offset:128       // permute edge values
ds_bpermute_b32 v134, v128, v134, offset:128       // permute edge values
	;; [unrolled: 1-line block ×3, first 2 shown]
s_waitcnt 0                                        // wait for swizzle operation
v_mov_b32 v20, v133                                // 
v_mov_b32 v21, v134                                // 
	;; [unrolled: 1-line block ×3, first 2 shown]
s_mov_b64 s[32:33], 0xFFFFFFFFFFFFFFFF             // to restore all threads active
s_or_saveexec_b64 vcc, s[32:33]                    // all threads active
s_branch label_0302                                // done shifting


/******************************************/
/* shift d1 r=3 mb=2 vw0                  */
/******************************************/
label_0143: // r3 mb2 vw0 
s_mov_b32 s32, 2                                   // 
_v_cmpx_eq_u32 s[32:33], v132, s32                 // is thread in edge glvw region
v_and_b32 v128, 63, v[vgprSerial]                  // permute register between threads
v_lshlrev_b32 v128, 2, v128                        // permute register between threads
v_mov_b32 v133, v9                                 // glvw 3 mb 2 tt1 0 r 0
v_mov_b32 v134, v10                                // glvw 3 mb 2 tt1 0 r 0
v_mov_b32 v135, v11                                // glvw 3 mb 2 tt1 0 r 0
ds_bpermute_b32 v133, v128, v133, offset:128       // permute edge values
ds_bpermute_b32 v134, v128, v134, offset:128       // permute edge values
	;; [unrolled: 1-line block ×3, first 2 shown]
s_waitcnt 0                                        // wait for swizzle operation
v_mov_b32 v8, v133                                 // 
v_mov_b32 v9, v134                                 // 
v_mov_b32 v10, v135                                // 
v_mov_b32 v133, v25                                // glvw 3 mb 2 tt1 1 r 0
v_mov_b32 v134, v26                                // glvw 3 mb 2 tt1 1 r 0
	;; [unrolled: 1-line block ×3, first 2 shown]
ds_bpermute_b32 v133, v128, v133, offset:128       // permute edge values
ds_bpermute_b32 v134, v128, v134, offset:128       // permute edge values
	;; [unrolled: 1-line block ×3, first 2 shown]
s_waitcnt 0                                        // wait for swizzle operation
v_mov_b32 v24, v133                                // 
v_mov_b32 v25, v134                                // 
	;; [unrolled: 1-line block ×3, first 2 shown]
s_mov_b64 s[32:33], 0xFFFFFFFFFFFFFFFF             // to restore all threads active
s_or_saveexec_b64 vcc, s[32:33]                    // all threads active
s_branch label_0302                                // done shifting


/******************************************/
/* shift d1 r=3 mb=3 vw0                  */
/******************************************/
label_0145: // r3 mb3 vw0 
s_mov_b32 s32, 3                                   // 
_v_cmpx_eq_u32 s[32:33], v132, s32                 // is thread in edge glvw region
v_and_b32 v128, 63, v[vgprSerial]                  // permute register between threads
v_lshlrev_b32 v128, 2, v128                        // permute register between threads
v_mov_b32 v133, v13                                // glvw 3 mb 3 tt1 0 r 0
v_mov_b32 v134, v14                                // glvw 3 mb 3 tt1 0 r 0
	;; [unrolled: 1-line block ×3, first 2 shown]
ds_bpermute_b32 v133, v128, v133, offset:128       // permute edge values
ds_bpermute_b32 v134, v128, v134, offset:128       // permute edge values
	;; [unrolled: 1-line block ×3, first 2 shown]
s_waitcnt 0                                        // wait for swizzle operation
v_mov_b32 v12, v133                                // 
v_mov_b32 v13, v134                                // 
	;; [unrolled: 1-line block ×3, first 2 shown]
v_mov_b32 v133, v29                                // glvw 3 mb 3 tt1 1 r 0
v_mov_b32 v134, v30                                // glvw 3 mb 3 tt1 1 r 0
	;; [unrolled: 1-line block ×3, first 2 shown]
ds_bpermute_b32 v133, v128, v133, offset:128       // permute edge values
ds_bpermute_b32 v134, v128, v134, offset:128       // permute edge values
	;; [unrolled: 1-line block ×3, first 2 shown]
s_waitcnt 0                                        // wait for swizzle operation
v_mov_b32 v28, v133                                // 
v_mov_b32 v29, v134                                // 
	;; [unrolled: 1-line block ×3, first 2 shown]
s_mov_b64 s[32:33], 0xFFFFFFFFFFFFFFFF             // to restore all threads active
s_or_saveexec_b64 vcc, s[32:33]                    // all threads active
s_branch label_0302                                // done shifting


/******************************************/
/* shift d1 r=3 mb=4 vw0                  */
/******************************************/
label_0147: // r3 mb4 vw0 
s_mov_b32 s32, 4                                   // 
_v_cmpx_eq_u32 s[32:33], v132, s32                 // is thread in edge glvw region
v_and_b32 v128, 63, v[vgprSerial]                  // permute register between threads
v_lshlrev_b32 v128, 2, v128                        // permute register between threads
v_mov_b32 v133, v33                                // glvw 3 mb 4 tt1 0 r 0
v_mov_b32 v134, v34                                // glvw 3 mb 4 tt1 0 r 0
	;; [unrolled: 1-line block ×3, first 2 shown]
ds_bpermute_b32 v133, v128, v133, offset:128       // permute edge values
ds_bpermute_b32 v134, v128, v134, offset:128       // permute edge values
	;; [unrolled: 1-line block ×3, first 2 shown]
s_waitcnt 0                                        // wait for swizzle operation
v_mov_b32 v32, v133                                // 
v_mov_b32 v33, v134                                // 
	;; [unrolled: 1-line block ×3, first 2 shown]
v_mov_b32 v133, v49                                // glvw 3 mb 4 tt1 1 r 0
v_mov_b32 v134, v50                                // glvw 3 mb 4 tt1 1 r 0
	;; [unrolled: 1-line block ×3, first 2 shown]
ds_bpermute_b32 v133, v128, v133, offset:128       // permute edge values
ds_bpermute_b32 v134, v128, v134, offset:128       // permute edge values
	;; [unrolled: 1-line block ×3, first 2 shown]
s_waitcnt 0                                        // wait for swizzle operation
v_mov_b32 v48, v133                                // 
v_mov_b32 v49, v134                                // 
	;; [unrolled: 1-line block ×3, first 2 shown]
s_mov_b64 s[32:33], 0xFFFFFFFFFFFFFFFF             // to restore all threads active
s_or_saveexec_b64 vcc, s[32:33]                    // all threads active
s_branch label_0302                                // done shifting


/******************************************/
/* shift d1 r=3 mb=5 vw0                  */
/******************************************/
label_0149: // r3 mb5 vw0 
s_mov_b32 s32, 5                                   // 
_v_cmpx_eq_u32 s[32:33], v132, s32                 // is thread in edge glvw region
v_and_b32 v128, 63, v[vgprSerial]                  // permute register between threads
v_lshlrev_b32 v128, 2, v128                        // permute register between threads
v_mov_b32 v133, v37                                // glvw 3 mb 5 tt1 0 r 0
v_mov_b32 v134, v38                                // glvw 3 mb 5 tt1 0 r 0
v_mov_b32 v135, v39                                // glvw 3 mb 5 tt1 0 r 0
ds_bpermute_b32 v133, v128, v133, offset:128       // permute edge values
ds_bpermute_b32 v134, v128, v134, offset:128       // permute edge values
	;; [unrolled: 1-line block ×3, first 2 shown]
s_waitcnt 0                                        // wait for swizzle operation
v_mov_b32 v36, v133                                // 
v_mov_b32 v37, v134                                // 
	;; [unrolled: 1-line block ×3, first 2 shown]
v_mov_b32 v133, v53                                // glvw 3 mb 5 tt1 1 r 0
v_mov_b32 v134, v54                                // glvw 3 mb 5 tt1 1 r 0
	;; [unrolled: 1-line block ×3, first 2 shown]
ds_bpermute_b32 v133, v128, v133, offset:128       // permute edge values
ds_bpermute_b32 v134, v128, v134, offset:128       // permute edge values
	;; [unrolled: 1-line block ×3, first 2 shown]
s_waitcnt 0                                        // wait for swizzle operation
v_mov_b32 v52, v133                                // 
v_mov_b32 v53, v134                                // 
	;; [unrolled: 1-line block ×3, first 2 shown]
s_mov_b64 s[32:33], 0xFFFFFFFFFFFFFFFF             // to restore all threads active
s_or_saveexec_b64 vcc, s[32:33]                    // all threads active
s_branch label_0302                                // done shifting


/******************************************/
/* shift d1 r=3 mb=6 vw0                  */
/******************************************/
label_0151: // r3 mb6 vw0 
s_mov_b32 s32, 6                                   // 
_v_cmpx_eq_u32 s[32:33], v132, s32                 // is thread in edge glvw region
v_and_b32 v128, 63, v[vgprSerial]                  // permute register between threads
v_lshlrev_b32 v128, 2, v128                        // permute register between threads
v_mov_b32 v133, v41                                // glvw 3 mb 6 tt1 0 r 0
v_mov_b32 v134, v42                                // glvw 3 mb 6 tt1 0 r 0
v_mov_b32 v135, v43                                // glvw 3 mb 6 tt1 0 r 0
ds_bpermute_b32 v133, v128, v133, offset:128       // permute edge values
ds_bpermute_b32 v134, v128, v134, offset:128       // permute edge values
	;; [unrolled: 1-line block ×3, first 2 shown]
s_waitcnt 0                                        // wait for swizzle operation
v_mov_b32 v40, v133                                // 
v_mov_b32 v41, v134                                // 
	;; [unrolled: 1-line block ×3, first 2 shown]
v_mov_b32 v133, v57                                // glvw 3 mb 6 tt1 1 r 0
v_mov_b32 v134, v58                                // glvw 3 mb 6 tt1 1 r 0
	;; [unrolled: 1-line block ×3, first 2 shown]
ds_bpermute_b32 v133, v128, v133, offset:128       // permute edge values
ds_bpermute_b32 v134, v128, v134, offset:128       // permute edge values
ds_bpermute_b32 v135, v128, v135, offset:128       // permute edge values
s_waitcnt 0                                        // wait for swizzle operation
v_mov_b32 v56, v133                                // 
v_mov_b32 v57, v134                                // 
	;; [unrolled: 1-line block ×3, first 2 shown]
s_mov_b64 s[32:33], 0xFFFFFFFFFFFFFFFF             // to restore all threads active
s_or_saveexec_b64 vcc, s[32:33]                    // all threads active
s_branch label_0302                                // done shifting


/******************************************/
/* shift d1 r=3 mb=7 vw0                  */
/******************************************/
label_0153: // r3 mb7 vw0 
s_mov_b32 s32, 7                                   // 
_v_cmpx_eq_u32 s[32:33], v132, s32                 // is thread in edge glvw region
v_and_b32 v128, 63, v[vgprSerial]                  // permute register between threads
v_lshlrev_b32 v128, 2, v128                        // permute register between threads
v_mov_b32 v133, v45                                // glvw 3 mb 7 tt1 0 r 0
v_mov_b32 v134, v46                                // glvw 3 mb 7 tt1 0 r 0
	;; [unrolled: 1-line block ×3, first 2 shown]
ds_bpermute_b32 v133, v128, v133, offset:128       // permute edge values
ds_bpermute_b32 v134, v128, v134, offset:128       // permute edge values
ds_bpermute_b32 v135, v128, v135, offset:128       // permute edge values
s_waitcnt 0                                        // wait for swizzle operation
v_mov_b32 v44, v133                                // 
v_mov_b32 v45, v134                                // 
	;; [unrolled: 1-line block ×3, first 2 shown]
v_mov_b32 v133, v61                                // glvw 3 mb 7 tt1 1 r 0
v_mov_b32 v134, v62                                // glvw 3 mb 7 tt1 1 r 0
	;; [unrolled: 1-line block ×3, first 2 shown]
ds_bpermute_b32 v133, v128, v133, offset:128       // permute edge values
ds_bpermute_b32 v134, v128, v134, offset:128       // permute edge values
	;; [unrolled: 1-line block ×3, first 2 shown]
s_waitcnt 0                                        // wait for swizzle operation
v_mov_b32 v60, v133                                // 
v_mov_b32 v61, v134                                // 
	;; [unrolled: 1-line block ×3, first 2 shown]
s_mov_b64 s[32:33], 0xFFFFFFFFFFFFFFFF             // to restore all threads active
s_or_saveexec_b64 vcc, s[32:33]                    // all threads active
s_branch label_0302                                // done shifting


/******************************************/
/* shift d1 r=3 mb=8 vw0                  */
/******************************************/
label_0155: // r3 mb8 vw0 
s_mov_b32 s32, 8                                   // 
_v_cmpx_eq_u32 s[32:33], v132, s32                 // is thread in edge glvw region
v_and_b32 v128, 63, v[vgprSerial]                  // permute register between threads
v_lshlrev_b32 v128, 2, v128                        // permute register between threads
v_mov_b32 v133, v65                                // glvw 3 mb 8 tt1 0 r 0
v_mov_b32 v134, v66                                // glvw 3 mb 8 tt1 0 r 0
	;; [unrolled: 1-line block ×3, first 2 shown]
ds_bpermute_b32 v133, v128, v133, offset:128       // permute edge values
ds_bpermute_b32 v134, v128, v134, offset:128       // permute edge values
	;; [unrolled: 1-line block ×3, first 2 shown]
s_waitcnt 0                                        // wait for swizzle operation
v_mov_b32 v64, v133                                // 
v_mov_b32 v65, v134                                // 
	;; [unrolled: 1-line block ×3, first 2 shown]
v_mov_b32 v133, v81                                // glvw 3 mb 8 tt1 1 r 0
v_mov_b32 v134, v82                                // glvw 3 mb 8 tt1 1 r 0
	;; [unrolled: 1-line block ×3, first 2 shown]
ds_bpermute_b32 v133, v128, v133, offset:128       // permute edge values
ds_bpermute_b32 v134, v128, v134, offset:128       // permute edge values
	;; [unrolled: 1-line block ×3, first 2 shown]
s_waitcnt 0                                        // wait for swizzle operation
v_mov_b32 v80, v133                                // 
v_mov_b32 v81, v134                                // 
	;; [unrolled: 1-line block ×3, first 2 shown]
s_mov_b64 s[32:33], 0xFFFFFFFFFFFFFFFF             // to restore all threads active
s_or_saveexec_b64 vcc, s[32:33]                    // all threads active
s_branch label_0302                                // done shifting


/******************************************/
/* shift d1 r=3 mb=9 vw0                  */
/******************************************/
label_0157: // r3 mb9 vw0 
s_mov_b32 s32, 9                                   // 
_v_cmpx_eq_u32 s[32:33], v132, s32                 // is thread in edge glvw region
v_and_b32 v128, 63, v[vgprSerial]                  // permute register between threads
v_lshlrev_b32 v128, 2, v128                        // permute register between threads
v_mov_b32 v133, v69                                // glvw 3 mb 9 tt1 0 r 0
v_mov_b32 v134, v70                                // glvw 3 mb 9 tt1 0 r 0
	;; [unrolled: 1-line block ×3, first 2 shown]
ds_bpermute_b32 v133, v128, v133, offset:128       // permute edge values
ds_bpermute_b32 v134, v128, v134, offset:128       // permute edge values
	;; [unrolled: 1-line block ×3, first 2 shown]
s_waitcnt 0                                        // wait for swizzle operation
v_mov_b32 v68, v133                                // 
v_mov_b32 v69, v134                                // 
	;; [unrolled: 1-line block ×3, first 2 shown]
v_mov_b32 v133, v85                                // glvw 3 mb 9 tt1 1 r 0
v_mov_b32 v134, v86                                // glvw 3 mb 9 tt1 1 r 0
	;; [unrolled: 1-line block ×3, first 2 shown]
ds_bpermute_b32 v133, v128, v133, offset:128       // permute edge values
ds_bpermute_b32 v134, v128, v134, offset:128       // permute edge values
	;; [unrolled: 1-line block ×3, first 2 shown]
s_waitcnt 0                                        // wait for swizzle operation
v_mov_b32 v84, v133                                // 
v_mov_b32 v85, v134                                // 
	;; [unrolled: 1-line block ×3, first 2 shown]
s_mov_b64 s[32:33], 0xFFFFFFFFFFFFFFFF             // to restore all threads active
s_or_saveexec_b64 vcc, s[32:33]                    // all threads active
s_branch label_0302                                // done shifting


/******************************************/
/* shift d1 r=3 mb=10 vw0                 */
/******************************************/
label_0159: // r3 mb10 vw0 
s_mov_b32 s32, 10                                  // 
_v_cmpx_eq_u32 s[32:33], v132, s32                 // is thread in edge glvw region
v_and_b32 v128, 63, v[vgprSerial]                  // permute register between threads
v_lshlrev_b32 v128, 2, v128                        // permute register between threads
v_mov_b32 v133, v73                                // glvw 3 mb 10 tt1 0 r 0
v_mov_b32 v134, v74                                // glvw 3 mb 10 tt1 0 r 0
	;; [unrolled: 1-line block ×3, first 2 shown]
ds_bpermute_b32 v133, v128, v133, offset:128       // permute edge values
ds_bpermute_b32 v134, v128, v134, offset:128       // permute edge values
	;; [unrolled: 1-line block ×3, first 2 shown]
s_waitcnt 0                                        // wait for swizzle operation
v_mov_b32 v72, v133                                // 
v_mov_b32 v73, v134                                // 
	;; [unrolled: 1-line block ×3, first 2 shown]
v_mov_b32 v133, v89                                // glvw 3 mb 10 tt1 1 r 0
v_mov_b32 v134, v90                                // glvw 3 mb 10 tt1 1 r 0
	;; [unrolled: 1-line block ×3, first 2 shown]
ds_bpermute_b32 v133, v128, v133, offset:128       // permute edge values
ds_bpermute_b32 v134, v128, v134, offset:128       // permute edge values
	;; [unrolled: 1-line block ×3, first 2 shown]
s_waitcnt 0                                        // wait for swizzle operation
v_mov_b32 v88, v133                                // 
v_mov_b32 v89, v134                                // 
v_mov_b32 v90, v135                                // 
s_mov_b64 s[32:33], 0xFFFFFFFFFFFFFFFF             // to restore all threads active
s_or_saveexec_b64 vcc, s[32:33]                    // all threads active
s_branch label_0302                                // done shifting


/******************************************/
/* shift d1 r=3 mb=11 vw0                 */
/******************************************/
label_0161: // r3 mb11 vw0 
s_mov_b32 s32, 11                                  // 
_v_cmpx_eq_u32 s[32:33], v132, s32                 // is thread in edge glvw region
v_and_b32 v128, 63, v[vgprSerial]                  // permute register between threads
v_lshlrev_b32 v128, 2, v128                        // permute register between threads
v_mov_b32 v133, v77                                // glvw 3 mb 11 tt1 0 r 0
v_mov_b32 v134, v78                                // glvw 3 mb 11 tt1 0 r 0
	;; [unrolled: 1-line block ×3, first 2 shown]
ds_bpermute_b32 v133, v128, v133, offset:128       // permute edge values
ds_bpermute_b32 v134, v128, v134, offset:128       // permute edge values
	;; [unrolled: 1-line block ×3, first 2 shown]
s_waitcnt 0                                        // wait for swizzle operation
v_mov_b32 v76, v133                                // 
v_mov_b32 v77, v134                                // 
	;; [unrolled: 1-line block ×3, first 2 shown]
v_mov_b32 v133, v93                                // glvw 3 mb 11 tt1 1 r 0
v_mov_b32 v134, v94                                // glvw 3 mb 11 tt1 1 r 0
v_mov_b32 v135, v95                                // glvw 3 mb 11 tt1 1 r 0
ds_bpermute_b32 v133, v128, v133, offset:128       // permute edge values
ds_bpermute_b32 v134, v128, v134, offset:128       // permute edge values
	;; [unrolled: 1-line block ×3, first 2 shown]
s_waitcnt 0                                        // wait for swizzle operation
v_mov_b32 v92, v133                                // 
v_mov_b32 v93, v134                                // 
	;; [unrolled: 1-line block ×3, first 2 shown]
s_mov_b64 s[32:33], 0xFFFFFFFFFFFFFFFF             // to restore all threads active
s_or_saveexec_b64 vcc, s[32:33]                    // all threads active
s_branch label_0302                                // done shifting


/******************************************/
/* shift d1 r=3 mb=12 vw0                 */
/******************************************/
label_0163: // r3 mb12 vw0 
s_mov_b32 s32, 12                                  // 
_v_cmpx_eq_u32 s[32:33], v132, s32                 // is thread in edge glvw region
v_and_b32 v128, 63, v[vgprSerial]                  // permute register between threads
v_lshlrev_b32 v128, 2, v128                        // permute register between threads
v_mov_b32 v133, v97                                // glvw 3 mb 12 tt1 0 r 0
v_mov_b32 v134, v98                                // glvw 3 mb 12 tt1 0 r 0
	;; [unrolled: 1-line block ×3, first 2 shown]
ds_bpermute_b32 v133, v128, v133, offset:128       // permute edge values
ds_bpermute_b32 v134, v128, v134, offset:128       // permute edge values
	;; [unrolled: 1-line block ×3, first 2 shown]
s_waitcnt 0                                        // wait for swizzle operation
v_mov_b32 v96, v133                                // 
v_mov_b32 v97, v134                                // 
	;; [unrolled: 1-line block ×3, first 2 shown]
v_mov_b32 v133, v113                               // glvw 3 mb 12 tt1 1 r 0
v_mov_b32 v134, v114                               // glvw 3 mb 12 tt1 1 r 0
	;; [unrolled: 1-line block ×3, first 2 shown]
ds_bpermute_b32 v133, v128, v133, offset:128       // permute edge values
ds_bpermute_b32 v134, v128, v134, offset:128       // permute edge values
	;; [unrolled: 1-line block ×3, first 2 shown]
s_waitcnt 0                                        // wait for swizzle operation
v_mov_b32 v112, v133                               // 
v_mov_b32 v113, v134                               // 
v_mov_b32 v114, v135                               // 
s_mov_b64 s[32:33], 0xFFFFFFFFFFFFFFFF             // to restore all threads active
s_or_saveexec_b64 vcc, s[32:33]                    // all threads active
s_branch label_0302                                // done shifting


/******************************************/
/* shift d1 r=3 mb=13 vw0                 */
/******************************************/
label_0165: // r3 mb13 vw0 
s_mov_b32 s32, 13                                  // 
_v_cmpx_eq_u32 s[32:33], v132, s32                 // is thread in edge glvw region
v_and_b32 v128, 63, v[vgprSerial]                  // permute register between threads
v_lshlrev_b32 v128, 2, v128                        // permute register between threads
v_mov_b32 v133, v101                               // glvw 3 mb 13 tt1 0 r 0
v_mov_b32 v134, v102                               // glvw 3 mb 13 tt1 0 r 0
	;; [unrolled: 1-line block ×3, first 2 shown]
ds_bpermute_b32 v133, v128, v133, offset:128       // permute edge values
ds_bpermute_b32 v134, v128, v134, offset:128       // permute edge values
	;; [unrolled: 1-line block ×3, first 2 shown]
s_waitcnt 0                                        // wait for swizzle operation
v_mov_b32 v100, v133                               // 
v_mov_b32 v101, v134                               // 
	;; [unrolled: 1-line block ×3, first 2 shown]
v_mov_b32 v133, v117                               // glvw 3 mb 13 tt1 1 r 0
v_mov_b32 v134, v118                               // glvw 3 mb 13 tt1 1 r 0
	;; [unrolled: 1-line block ×3, first 2 shown]
ds_bpermute_b32 v133, v128, v133, offset:128       // permute edge values
ds_bpermute_b32 v134, v128, v134, offset:128       // permute edge values
	;; [unrolled: 1-line block ×3, first 2 shown]
s_waitcnt 0                                        // wait for swizzle operation
v_mov_b32 v116, v133                               // 
v_mov_b32 v117, v134                               // 
	;; [unrolled: 1-line block ×3, first 2 shown]
s_mov_b64 s[32:33], 0xFFFFFFFFFFFFFFFF             // to restore all threads active
s_or_saveexec_b64 vcc, s[32:33]                    // all threads active
s_branch label_0302                                // done shifting


/******************************************/
/* shift d1 r=3 mb=14 vw0                 */
/******************************************/
label_0167: // r3 mb14 vw0 
s_mov_b32 s32, 14                                  // 
_v_cmpx_eq_u32 s[32:33], v132, s32                 // is thread in edge glvw region
v_and_b32 v128, 63, v[vgprSerial]                  // permute register between threads
v_lshlrev_b32 v128, 2, v128                        // permute register between threads
v_mov_b32 v133, v105                               // glvw 3 mb 14 tt1 0 r 0
v_mov_b32 v134, v106                               // glvw 3 mb 14 tt1 0 r 0
v_mov_b32 v135, v107                               // glvw 3 mb 14 tt1 0 r 0
ds_bpermute_b32 v133, v128, v133, offset:128       // permute edge values
ds_bpermute_b32 v134, v128, v134, offset:128       // permute edge values
	;; [unrolled: 1-line block ×3, first 2 shown]
s_waitcnt 0                                        // wait for swizzle operation
v_mov_b32 v104, v133                               // 
v_mov_b32 v105, v134                               // 
	;; [unrolled: 1-line block ×3, first 2 shown]
v_mov_b32 v133, v121                               // glvw 3 mb 14 tt1 1 r 0
v_mov_b32 v134, v122                               // glvw 3 mb 14 tt1 1 r 0
	;; [unrolled: 1-line block ×3, first 2 shown]
ds_bpermute_b32 v133, v128, v133, offset:128       // permute edge values
ds_bpermute_b32 v134, v128, v134, offset:128       // permute edge values
	;; [unrolled: 1-line block ×3, first 2 shown]
s_waitcnt 0                                        // wait for swizzle operation
v_mov_b32 v120, v133                               // 
v_mov_b32 v121, v134                               // 
	;; [unrolled: 1-line block ×3, first 2 shown]
s_mov_b64 s[32:33], 0xFFFFFFFFFFFFFFFF             // to restore all threads active
s_or_saveexec_b64 vcc, s[32:33]                    // all threads active
s_branch label_0302                                // done shifting


/******************************************/
/* shift d1 r=3 mb=15 vw0                 */
/******************************************/
label_0169: // r3 mb15 vw0 
s_mov_b32 s32, 15                                  // 
_v_cmpx_eq_u32 s[32:33], v132, s32                 // is thread in edge glvw region
v_and_b32 v128, 63, v[vgprSerial]                  // permute register between threads
v_lshlrev_b32 v128, 2, v128                        // permute register between threads
v_mov_b32 v133, v109                               // glvw 3 mb 15 tt1 0 r 0
v_mov_b32 v134, v110                               // glvw 3 mb 15 tt1 0 r 0
	;; [unrolled: 1-line block ×3, first 2 shown]
ds_bpermute_b32 v133, v128, v133, offset:128       // permute edge values
ds_bpermute_b32 v134, v128, v134, offset:128       // permute edge values
	;; [unrolled: 1-line block ×3, first 2 shown]
s_waitcnt 0                                        // wait for swizzle operation
v_mov_b32 v108, v133                               // 
v_mov_b32 v109, v134                               // 
	;; [unrolled: 1-line block ×3, first 2 shown]
v_mov_b32 v133, v125                               // glvw 3 mb 15 tt1 1 r 0
v_mov_b32 v134, v126                               // glvw 3 mb 15 tt1 1 r 0
	;; [unrolled: 1-line block ×3, first 2 shown]
ds_bpermute_b32 v133, v128, v133, offset:128       // permute edge values
ds_bpermute_b32 v134, v128, v134, offset:128       // permute edge values
	;; [unrolled: 1-line block ×3, first 2 shown]
s_waitcnt 0                                        // wait for swizzle operation
v_mov_b32 v124, v133                               // 
v_mov_b32 v125, v134                               // 
	;; [unrolled: 1-line block ×3, first 2 shown]
s_mov_b64 s[32:33], 0xFFFFFFFFFFFFFFFF             // to restore all threads active
s_or_saveexec_b64 vcc, s[32:33]                    // all threads active
s_branch label_0302                                // done shifting


/******************************************/
/* shift d1 r=4 mb=0 vw0                  */
/******************************************/
label_0172: // r4 mb0 vw0 
s_mov_b32 s32, 0                                   // 
_v_cmpx_eq_u32 s[32:33], v132, s32                 // is thread in edge glvw region
v_and_b32 v128, 63, v[vgprSerial]                  // permute register between threads
v_lshlrev_b32 v128, 2, v128                        // permute register between threads
v_mov_b32 v133, v0                                 // glvw 4 mb 0 tt1 0 r 0
v_mov_b32 v134, v1                                 // glvw 4 mb 0 tt1 0 r 0
v_mov_b32 v135, v2                                 // glvw 4 mb 0 tt1 0 r 0
v_mov_b32 v136, v3                                 // glvw 4 mb 0 tt1 0 r 0
ds_bpermute_b32 v133, v128, v133, offset:128       // permute edge values
ds_bpermute_b32 v134, v128, v134, offset:128       // permute edge values
	;; [unrolled: 1-line block ×4, first 2 shown]
s_waitcnt 0                                        // wait for swizzle operation
v_mov_b32 v0, v133                                 // 
v_mov_b32 v1, v134                                 // 
	;; [unrolled: 1-line block ×4, first 2 shown]
v_mov_b32 v133, v16                                // glvw 4 mb 0 tt1 1 r 0
v_mov_b32 v134, v17                                // glvw 4 mb 0 tt1 1 r 0
	;; [unrolled: 1-line block ×4, first 2 shown]
ds_bpermute_b32 v133, v128, v133, offset:128       // permute edge values
ds_bpermute_b32 v134, v128, v134, offset:128       // permute edge values
	;; [unrolled: 1-line block ×4, first 2 shown]
s_waitcnt 0                                        // wait for swizzle operation
v_mov_b32 v16, v133                                // 
v_mov_b32 v17, v134                                // 
	;; [unrolled: 1-line block ×4, first 2 shown]
s_mov_b64 s[32:33], 0xFFFFFFFFFFFFFFFF             // to restore all threads active
s_or_saveexec_b64 vcc, s[32:33]                    // all threads active
s_branch label_0302                                // done shifting


/******************************************/
/* shift d1 r=4 mb=1 vw0                  */
/******************************************/
label_0174: // r4 mb1 vw0 
s_mov_b32 s32, 1                                   // 
_v_cmpx_eq_u32 s[32:33], v132, s32                 // is thread in edge glvw region
v_and_b32 v128, 63, v[vgprSerial]                  // permute register between threads
v_lshlrev_b32 v128, 2, v128                        // permute register between threads
v_mov_b32 v133, v4                                 // glvw 4 mb 1 tt1 0 r 0
v_mov_b32 v134, v5                                 // glvw 4 mb 1 tt1 0 r 0
	;; [unrolled: 1-line block ×4, first 2 shown]
ds_bpermute_b32 v133, v128, v133, offset:128       // permute edge values
ds_bpermute_b32 v134, v128, v134, offset:128       // permute edge values
	;; [unrolled: 1-line block ×4, first 2 shown]
s_waitcnt 0                                        // wait for swizzle operation
v_mov_b32 v4, v133                                 // 
v_mov_b32 v5, v134                                 // 
	;; [unrolled: 1-line block ×4, first 2 shown]
v_mov_b32 v133, v20                                // glvw 4 mb 1 tt1 1 r 0
v_mov_b32 v134, v21                                // glvw 4 mb 1 tt1 1 r 0
	;; [unrolled: 1-line block ×4, first 2 shown]
ds_bpermute_b32 v133, v128, v133, offset:128       // permute edge values
ds_bpermute_b32 v134, v128, v134, offset:128       // permute edge values
	;; [unrolled: 1-line block ×4, first 2 shown]
s_waitcnt 0                                        // wait for swizzle operation
v_mov_b32 v20, v133                                // 
v_mov_b32 v21, v134                                // 
v_mov_b32 v22, v135                                // 
v_mov_b32 v23, v136                                // 
s_mov_b64 s[32:33], 0xFFFFFFFFFFFFFFFF             // to restore all threads active
s_or_saveexec_b64 vcc, s[32:33]                    // all threads active
s_branch label_0302                                // done shifting


/******************************************/
/* shift d1 r=4 mb=2 vw0                  */
/******************************************/
label_0176: // r4 mb2 vw0 
s_mov_b32 s32, 2                                   // 
_v_cmpx_eq_u32 s[32:33], v132, s32                 // is thread in edge glvw region
v_and_b32 v128, 63, v[vgprSerial]                  // permute register between threads
v_lshlrev_b32 v128, 2, v128                        // permute register between threads
v_mov_b32 v133, v8                                 // glvw 4 mb 2 tt1 0 r 0
v_mov_b32 v134, v9                                 // glvw 4 mb 2 tt1 0 r 0
v_mov_b32 v135, v10                                // glvw 4 mb 2 tt1 0 r 0
v_mov_b32 v136, v11                                // glvw 4 mb 2 tt1 0 r 0
ds_bpermute_b32 v133, v128, v133, offset:128       // permute edge values
ds_bpermute_b32 v134, v128, v134, offset:128       // permute edge values
ds_bpermute_b32 v135, v128, v135, offset:128       // permute edge values
ds_bpermute_b32 v136, v128, v136, offset:128       // permute edge values
s_waitcnt 0                                        // wait for swizzle operation
v_mov_b32 v8, v133                                 // 
v_mov_b32 v9, v134                                 // 
v_mov_b32 v10, v135                                // 
v_mov_b32 v11, v136                                // 
v_mov_b32 v133, v24                                // glvw 4 mb 2 tt1 1 r 0
v_mov_b32 v134, v25                                // glvw 4 mb 2 tt1 1 r 0
	;; [unrolled: 1-line block ×4, first 2 shown]
ds_bpermute_b32 v133, v128, v133, offset:128       // permute edge values
ds_bpermute_b32 v134, v128, v134, offset:128       // permute edge values
ds_bpermute_b32 v135, v128, v135, offset:128       // permute edge values
ds_bpermute_b32 v136, v128, v136, offset:128       // permute edge values
s_waitcnt 0                                        // wait for swizzle operation
v_mov_b32 v24, v133                                // 
v_mov_b32 v25, v134                                // 
	;; [unrolled: 1-line block ×4, first 2 shown]
s_mov_b64 s[32:33], 0xFFFFFFFFFFFFFFFF             // to restore all threads active
s_or_saveexec_b64 vcc, s[32:33]                    // all threads active
s_branch label_0302                                // done shifting


/******************************************/
/* shift d1 r=4 mb=3 vw0                  */
/******************************************/
label_0178: // r4 mb3 vw0 
s_mov_b32 s32, 3                                   // 
_v_cmpx_eq_u32 s[32:33], v132, s32                 // is thread in edge glvw region
v_and_b32 v128, 63, v[vgprSerial]                  // permute register between threads
v_lshlrev_b32 v128, 2, v128                        // permute register between threads
v_mov_b32 v133, v12                                // glvw 4 mb 3 tt1 0 r 0
v_mov_b32 v134, v13                                // glvw 4 mb 3 tt1 0 r 0
	;; [unrolled: 1-line block ×4, first 2 shown]
ds_bpermute_b32 v133, v128, v133, offset:128       // permute edge values
ds_bpermute_b32 v134, v128, v134, offset:128       // permute edge values
	;; [unrolled: 1-line block ×4, first 2 shown]
s_waitcnt 0                                        // wait for swizzle operation
v_mov_b32 v12, v133                                // 
v_mov_b32 v13, v134                                // 
	;; [unrolled: 1-line block ×4, first 2 shown]
v_mov_b32 v133, v28                                // glvw 4 mb 3 tt1 1 r 0
v_mov_b32 v134, v29                                // glvw 4 mb 3 tt1 1 r 0
	;; [unrolled: 1-line block ×4, first 2 shown]
ds_bpermute_b32 v133, v128, v133, offset:128       // permute edge values
ds_bpermute_b32 v134, v128, v134, offset:128       // permute edge values
	;; [unrolled: 1-line block ×4, first 2 shown]
s_waitcnt 0                                        // wait for swizzle operation
v_mov_b32 v28, v133                                // 
v_mov_b32 v29, v134                                // 
	;; [unrolled: 1-line block ×4, first 2 shown]
s_mov_b64 s[32:33], 0xFFFFFFFFFFFFFFFF             // to restore all threads active
s_or_saveexec_b64 vcc, s[32:33]                    // all threads active
s_branch label_0302                                // done shifting


/******************************************/
/* shift d1 r=4 mb=4 vw0                  */
/******************************************/
label_0180: // r4 mb4 vw0 
s_mov_b32 s32, 4                                   // 
_v_cmpx_eq_u32 s[32:33], v132, s32                 // is thread in edge glvw region
v_and_b32 v128, 63, v[vgprSerial]                  // permute register between threads
v_lshlrev_b32 v128, 2, v128                        // permute register between threads
v_mov_b32 v133, v32                                // glvw 4 mb 4 tt1 0 r 0
v_mov_b32 v134, v33                                // glvw 4 mb 4 tt1 0 r 0
	;; [unrolled: 1-line block ×4, first 2 shown]
ds_bpermute_b32 v133, v128, v133, offset:128       // permute edge values
ds_bpermute_b32 v134, v128, v134, offset:128       // permute edge values
	;; [unrolled: 1-line block ×4, first 2 shown]
s_waitcnt 0                                        // wait for swizzle operation
v_mov_b32 v32, v133                                // 
v_mov_b32 v33, v134                                // 
	;; [unrolled: 1-line block ×4, first 2 shown]
v_mov_b32 v133, v48                                // glvw 4 mb 4 tt1 1 r 0
v_mov_b32 v134, v49                                // glvw 4 mb 4 tt1 1 r 0
	;; [unrolled: 1-line block ×4, first 2 shown]
ds_bpermute_b32 v133, v128, v133, offset:128       // permute edge values
ds_bpermute_b32 v134, v128, v134, offset:128       // permute edge values
	;; [unrolled: 1-line block ×4, first 2 shown]
s_waitcnt 0                                        // wait for swizzle operation
v_mov_b32 v48, v133                                // 
v_mov_b32 v49, v134                                // 
	;; [unrolled: 1-line block ×4, first 2 shown]
s_mov_b64 s[32:33], 0xFFFFFFFFFFFFFFFF             // to restore all threads active
s_or_saveexec_b64 vcc, s[32:33]                    // all threads active
s_branch label_0302                                // done shifting


/******************************************/
/* shift d1 r=4 mb=5 vw0                  */
/******************************************/
label_0182: // r4 mb5 vw0 
s_mov_b32 s32, 5                                   // 
_v_cmpx_eq_u32 s[32:33], v132, s32                 // is thread in edge glvw region
v_and_b32 v128, 63, v[vgprSerial]                  // permute register between threads
v_lshlrev_b32 v128, 2, v128                        // permute register between threads
v_mov_b32 v133, v36                                // glvw 4 mb 5 tt1 0 r 0
v_mov_b32 v134, v37                                // glvw 4 mb 5 tt1 0 r 0
v_mov_b32 v135, v38                                // glvw 4 mb 5 tt1 0 r 0
v_mov_b32 v136, v39                                // glvw 4 mb 5 tt1 0 r 0
ds_bpermute_b32 v133, v128, v133, offset:128       // permute edge values
ds_bpermute_b32 v134, v128, v134, offset:128       // permute edge values
	;; [unrolled: 1-line block ×4, first 2 shown]
s_waitcnt 0                                        // wait for swizzle operation
v_mov_b32 v36, v133                                // 
v_mov_b32 v37, v134                                // 
	;; [unrolled: 1-line block ×4, first 2 shown]
v_mov_b32 v133, v52                                // glvw 4 mb 5 tt1 1 r 0
v_mov_b32 v134, v53                                // glvw 4 mb 5 tt1 1 r 0
v_mov_b32 v135, v54                                // glvw 4 mb 5 tt1 1 r 0
v_mov_b32 v136, v55                                // glvw 4 mb 5 tt1 1 r 0
ds_bpermute_b32 v133, v128, v133, offset:128       // permute edge values
ds_bpermute_b32 v134, v128, v134, offset:128       // permute edge values
	;; [unrolled: 1-line block ×4, first 2 shown]
s_waitcnt 0                                        // wait for swizzle operation
v_mov_b32 v52, v133                                // 
v_mov_b32 v53, v134                                // 
	;; [unrolled: 1-line block ×4, first 2 shown]
s_mov_b64 s[32:33], 0xFFFFFFFFFFFFFFFF             // to restore all threads active
s_or_saveexec_b64 vcc, s[32:33]                    // all threads active
s_branch label_0302                                // done shifting


/******************************************/
/* shift d1 r=4 mb=6 vw0                  */
/******************************************/
label_0184: // r4 mb6 vw0 
s_mov_b32 s32, 6                                   // 
_v_cmpx_eq_u32 s[32:33], v132, s32                 // is thread in edge glvw region
v_and_b32 v128, 63, v[vgprSerial]                  // permute register between threads
v_lshlrev_b32 v128, 2, v128                        // permute register between threads
v_mov_b32 v133, v40                                // glvw 4 mb 6 tt1 0 r 0
v_mov_b32 v134, v41                                // glvw 4 mb 6 tt1 0 r 0
	;; [unrolled: 1-line block ×4, first 2 shown]
ds_bpermute_b32 v133, v128, v133, offset:128       // permute edge values
ds_bpermute_b32 v134, v128, v134, offset:128       // permute edge values
	;; [unrolled: 1-line block ×4, first 2 shown]
s_waitcnt 0                                        // wait for swizzle operation
v_mov_b32 v40, v133                                // 
v_mov_b32 v41, v134                                // 
v_mov_b32 v42, v135                                // 
v_mov_b32 v43, v136                                // 
v_mov_b32 v133, v56                                // glvw 4 mb 6 tt1 1 r 0
v_mov_b32 v134, v57                                // glvw 4 mb 6 tt1 1 r 0
	;; [unrolled: 1-line block ×4, first 2 shown]
ds_bpermute_b32 v133, v128, v133, offset:128       // permute edge values
ds_bpermute_b32 v134, v128, v134, offset:128       // permute edge values
	;; [unrolled: 1-line block ×4, first 2 shown]
s_waitcnt 0                                        // wait for swizzle operation
v_mov_b32 v56, v133                                // 
v_mov_b32 v57, v134                                // 
	;; [unrolled: 1-line block ×4, first 2 shown]
s_mov_b64 s[32:33], 0xFFFFFFFFFFFFFFFF             // to restore all threads active
s_or_saveexec_b64 vcc, s[32:33]                    // all threads active
s_branch label_0302                                // done shifting


/******************************************/
/* shift d1 r=4 mb=7 vw0                  */
/******************************************/
label_0186: // r4 mb7 vw0 
s_mov_b32 s32, 7                                   // 
_v_cmpx_eq_u32 s[32:33], v132, s32                 // is thread in edge glvw region
v_and_b32 v128, 63, v[vgprSerial]                  // permute register between threads
v_lshlrev_b32 v128, 2, v128                        // permute register between threads
v_mov_b32 v133, v44                                // glvw 4 mb 7 tt1 0 r 0
v_mov_b32 v134, v45                                // glvw 4 mb 7 tt1 0 r 0
	;; [unrolled: 1-line block ×4, first 2 shown]
ds_bpermute_b32 v133, v128, v133, offset:128       // permute edge values
ds_bpermute_b32 v134, v128, v134, offset:128       // permute edge values
	;; [unrolled: 1-line block ×4, first 2 shown]
s_waitcnt 0                                        // wait for swizzle operation
v_mov_b32 v44, v133                                // 
v_mov_b32 v45, v134                                // 
v_mov_b32 v46, v135                                // 
v_mov_b32 v47, v136                                // 
v_mov_b32 v133, v60                                // glvw 4 mb 7 tt1 1 r 0
v_mov_b32 v134, v61                                // glvw 4 mb 7 tt1 1 r 0
	;; [unrolled: 1-line block ×4, first 2 shown]
ds_bpermute_b32 v133, v128, v133, offset:128       // permute edge values
ds_bpermute_b32 v134, v128, v134, offset:128       // permute edge values
	;; [unrolled: 1-line block ×4, first 2 shown]
s_waitcnt 0                                        // wait for swizzle operation
v_mov_b32 v60, v133                                // 
v_mov_b32 v61, v134                                // 
	;; [unrolled: 1-line block ×4, first 2 shown]
s_mov_b64 s[32:33], 0xFFFFFFFFFFFFFFFF             // to restore all threads active
s_or_saveexec_b64 vcc, s[32:33]                    // all threads active
s_branch label_0302                                // done shifting


/******************************************/
/* shift d1 r=4 mb=8 vw0                  */
/******************************************/
label_0188: // r4 mb8 vw0 
s_mov_b32 s32, 8                                   // 
_v_cmpx_eq_u32 s[32:33], v132, s32                 // is thread in edge glvw region
v_and_b32 v128, 63, v[vgprSerial]                  // permute register between threads
v_lshlrev_b32 v128, 2, v128                        // permute register between threads
v_mov_b32 v133, v64                                // glvw 4 mb 8 tt1 0 r 0
v_mov_b32 v134, v65                                // glvw 4 mb 8 tt1 0 r 0
	;; [unrolled: 1-line block ×4, first 2 shown]
ds_bpermute_b32 v133, v128, v133, offset:128       // permute edge values
ds_bpermute_b32 v134, v128, v134, offset:128       // permute edge values
ds_bpermute_b32 v135, v128, v135, offset:128       // permute edge values
ds_bpermute_b32 v136, v128, v136, offset:128       // permute edge values
s_waitcnt 0                                        // wait for swizzle operation
v_mov_b32 v64, v133                                // 
v_mov_b32 v65, v134                                // 
	;; [unrolled: 1-line block ×4, first 2 shown]
v_mov_b32 v133, v80                                // glvw 4 mb 8 tt1 1 r 0
v_mov_b32 v134, v81                                // glvw 4 mb 8 tt1 1 r 0
	;; [unrolled: 1-line block ×4, first 2 shown]
ds_bpermute_b32 v133, v128, v133, offset:128       // permute edge values
ds_bpermute_b32 v134, v128, v134, offset:128       // permute edge values
	;; [unrolled: 1-line block ×4, first 2 shown]
s_waitcnt 0                                        // wait for swizzle operation
v_mov_b32 v80, v133                                // 
v_mov_b32 v81, v134                                // 
	;; [unrolled: 1-line block ×4, first 2 shown]
s_mov_b64 s[32:33], 0xFFFFFFFFFFFFFFFF             // to restore all threads active
s_or_saveexec_b64 vcc, s[32:33]                    // all threads active
s_branch label_0302                                // done shifting


/******************************************/
/* shift d1 r=4 mb=9 vw0                  */
/******************************************/
label_0190: // r4 mb9 vw0 
s_mov_b32 s32, 9                                   // 
_v_cmpx_eq_u32 s[32:33], v132, s32                 // is thread in edge glvw region
v_and_b32 v128, 63, v[vgprSerial]                  // permute register between threads
v_lshlrev_b32 v128, 2, v128                        // permute register between threads
v_mov_b32 v133, v68                                // glvw 4 mb 9 tt1 0 r 0
v_mov_b32 v134, v69                                // glvw 4 mb 9 tt1 0 r 0
	;; [unrolled: 1-line block ×4, first 2 shown]
ds_bpermute_b32 v133, v128, v133, offset:128       // permute edge values
ds_bpermute_b32 v134, v128, v134, offset:128       // permute edge values
	;; [unrolled: 1-line block ×4, first 2 shown]
s_waitcnt 0                                        // wait for swizzle operation
v_mov_b32 v68, v133                                // 
v_mov_b32 v69, v134                                // 
	;; [unrolled: 1-line block ×4, first 2 shown]
v_mov_b32 v133, v84                                // glvw 4 mb 9 tt1 1 r 0
v_mov_b32 v134, v85                                // glvw 4 mb 9 tt1 1 r 0
	;; [unrolled: 1-line block ×4, first 2 shown]
ds_bpermute_b32 v133, v128, v133, offset:128       // permute edge values
ds_bpermute_b32 v134, v128, v134, offset:128       // permute edge values
	;; [unrolled: 1-line block ×4, first 2 shown]
s_waitcnt 0                                        // wait for swizzle operation
v_mov_b32 v84, v133                                // 
v_mov_b32 v85, v134                                // 
	;; [unrolled: 1-line block ×4, first 2 shown]
s_mov_b64 s[32:33], 0xFFFFFFFFFFFFFFFF             // to restore all threads active
s_or_saveexec_b64 vcc, s[32:33]                    // all threads active
s_branch label_0302                                // done shifting


/******************************************/
/* shift d1 r=4 mb=10 vw0                 */
/******************************************/
label_0192: // r4 mb10 vw0 
s_mov_b32 s32, 10                                  // 
_v_cmpx_eq_u32 s[32:33], v132, s32                 // is thread in edge glvw region
v_and_b32 v128, 63, v[vgprSerial]                  // permute register between threads
v_lshlrev_b32 v128, 2, v128                        // permute register between threads
v_mov_b32 v133, v72                                // glvw 4 mb 10 tt1 0 r 0
v_mov_b32 v134, v73                                // glvw 4 mb 10 tt1 0 r 0
	;; [unrolled: 1-line block ×4, first 2 shown]
ds_bpermute_b32 v133, v128, v133, offset:128       // permute edge values
ds_bpermute_b32 v134, v128, v134, offset:128       // permute edge values
	;; [unrolled: 1-line block ×4, first 2 shown]
s_waitcnt 0                                        // wait for swizzle operation
v_mov_b32 v72, v133                                // 
v_mov_b32 v73, v134                                // 
	;; [unrolled: 1-line block ×4, first 2 shown]
v_mov_b32 v133, v88                                // glvw 4 mb 10 tt1 1 r 0
v_mov_b32 v134, v89                                // glvw 4 mb 10 tt1 1 r 0
v_mov_b32 v135, v90                                // glvw 4 mb 10 tt1 1 r 0
v_mov_b32 v136, v91                                // glvw 4 mb 10 tt1 1 r 0
ds_bpermute_b32 v133, v128, v133, offset:128       // permute edge values
ds_bpermute_b32 v134, v128, v134, offset:128       // permute edge values
	;; [unrolled: 1-line block ×4, first 2 shown]
s_waitcnt 0                                        // wait for swizzle operation
v_mov_b32 v88, v133                                // 
v_mov_b32 v89, v134                                // 
	;; [unrolled: 1-line block ×4, first 2 shown]
s_mov_b64 s[32:33], 0xFFFFFFFFFFFFFFFF             // to restore all threads active
s_or_saveexec_b64 vcc, s[32:33]                    // all threads active
s_branch label_0302                                // done shifting


/******************************************/
/* shift d1 r=4 mb=11 vw0                 */
/******************************************/
label_0194: // r4 mb11 vw0 
s_mov_b32 s32, 11                                  // 
_v_cmpx_eq_u32 s[32:33], v132, s32                 // is thread in edge glvw region
v_and_b32 v128, 63, v[vgprSerial]                  // permute register between threads
v_lshlrev_b32 v128, 2, v128                        // permute register between threads
v_mov_b32 v133, v76                                // glvw 4 mb 11 tt1 0 r 0
v_mov_b32 v134, v77                                // glvw 4 mb 11 tt1 0 r 0
	;; [unrolled: 1-line block ×4, first 2 shown]
ds_bpermute_b32 v133, v128, v133, offset:128       // permute edge values
ds_bpermute_b32 v134, v128, v134, offset:128       // permute edge values
	;; [unrolled: 1-line block ×4, first 2 shown]
s_waitcnt 0                                        // wait for swizzle operation
v_mov_b32 v76, v133                                // 
v_mov_b32 v77, v134                                // 
	;; [unrolled: 1-line block ×4, first 2 shown]
v_mov_b32 v133, v92                                // glvw 4 mb 11 tt1 1 r 0
v_mov_b32 v134, v93                                // glvw 4 mb 11 tt1 1 r 0
	;; [unrolled: 1-line block ×4, first 2 shown]
ds_bpermute_b32 v133, v128, v133, offset:128       // permute edge values
ds_bpermute_b32 v134, v128, v134, offset:128       // permute edge values
	;; [unrolled: 1-line block ×4, first 2 shown]
s_waitcnt 0                                        // wait for swizzle operation
v_mov_b32 v92, v133                                // 
v_mov_b32 v93, v134                                // 
	;; [unrolled: 1-line block ×4, first 2 shown]
s_mov_b64 s[32:33], 0xFFFFFFFFFFFFFFFF             // to restore all threads active
s_or_saveexec_b64 vcc, s[32:33]                    // all threads active
s_branch label_0302                                // done shifting


/******************************************/
/* shift d1 r=4 mb=12 vw0                 */
/******************************************/
label_0196: // r4 mb12 vw0 
s_mov_b32 s32, 12                                  // 
_v_cmpx_eq_u32 s[32:33], v132, s32                 // is thread in edge glvw region
v_and_b32 v128, 63, v[vgprSerial]                  // permute register between threads
v_lshlrev_b32 v128, 2, v128                        // permute register between threads
v_mov_b32 v133, v96                                // glvw 4 mb 12 tt1 0 r 0
v_mov_b32 v134, v97                                // glvw 4 mb 12 tt1 0 r 0
	;; [unrolled: 1-line block ×4, first 2 shown]
ds_bpermute_b32 v133, v128, v133, offset:128       // permute edge values
ds_bpermute_b32 v134, v128, v134, offset:128       // permute edge values
	;; [unrolled: 1-line block ×4, first 2 shown]
s_waitcnt 0                                        // wait for swizzle operation
v_mov_b32 v96, v133                                // 
v_mov_b32 v97, v134                                // 
v_mov_b32 v98, v135                                // 
v_mov_b32 v99, v136                                // 
v_mov_b32 v133, v112                               // glvw 4 mb 12 tt1 1 r 0
v_mov_b32 v134, v113                               // glvw 4 mb 12 tt1 1 r 0
	;; [unrolled: 1-line block ×4, first 2 shown]
ds_bpermute_b32 v133, v128, v133, offset:128       // permute edge values
ds_bpermute_b32 v134, v128, v134, offset:128       // permute edge values
	;; [unrolled: 1-line block ×4, first 2 shown]
s_waitcnt 0                                        // wait for swizzle operation
v_mov_b32 v112, v133                               // 
v_mov_b32 v113, v134                               // 
	;; [unrolled: 1-line block ×4, first 2 shown]
s_mov_b64 s[32:33], 0xFFFFFFFFFFFFFFFF             // to restore all threads active
s_or_saveexec_b64 vcc, s[32:33]                    // all threads active
s_branch label_0302                                // done shifting


/******************************************/
/* shift d1 r=4 mb=13 vw0                 */
/******************************************/
label_0198: // r4 mb13 vw0 
s_mov_b32 s32, 13                                  // 
_v_cmpx_eq_u32 s[32:33], v132, s32                 // is thread in edge glvw region
v_and_b32 v128, 63, v[vgprSerial]                  // permute register between threads
v_lshlrev_b32 v128, 2, v128                        // permute register between threads
v_mov_b32 v133, v100                               // glvw 4 mb 13 tt1 0 r 0
v_mov_b32 v134, v101                               // glvw 4 mb 13 tt1 0 r 0
	;; [unrolled: 1-line block ×4, first 2 shown]
ds_bpermute_b32 v133, v128, v133, offset:128       // permute edge values
ds_bpermute_b32 v134, v128, v134, offset:128       // permute edge values
	;; [unrolled: 1-line block ×4, first 2 shown]
s_waitcnt 0                                        // wait for swizzle operation
v_mov_b32 v100, v133                               // 
v_mov_b32 v101, v134                               // 
	;; [unrolled: 1-line block ×4, first 2 shown]
v_mov_b32 v133, v116                               // glvw 4 mb 13 tt1 1 r 0
v_mov_b32 v134, v117                               // glvw 4 mb 13 tt1 1 r 0
	;; [unrolled: 1-line block ×4, first 2 shown]
ds_bpermute_b32 v133, v128, v133, offset:128       // permute edge values
ds_bpermute_b32 v134, v128, v134, offset:128       // permute edge values
	;; [unrolled: 1-line block ×4, first 2 shown]
s_waitcnt 0                                        // wait for swizzle operation
v_mov_b32 v116, v133                               // 
v_mov_b32 v117, v134                               // 
	;; [unrolled: 1-line block ×4, first 2 shown]
s_mov_b64 s[32:33], 0xFFFFFFFFFFFFFFFF             // to restore all threads active
s_or_saveexec_b64 vcc, s[32:33]                    // all threads active
s_branch label_0302                                // done shifting


/******************************************/
/* shift d1 r=4 mb=14 vw0                 */
/******************************************/
label_0200: // r4 mb14 vw0 
s_mov_b32 s32, 14                                  // 
_v_cmpx_eq_u32 s[32:33], v132, s32                 // is thread in edge glvw region
v_and_b32 v128, 63, v[vgprSerial]                  // permute register between threads
v_lshlrev_b32 v128, 2, v128                        // permute register between threads
v_mov_b32 v133, v104                               // glvw 4 mb 14 tt1 0 r 0
v_mov_b32 v134, v105                               // glvw 4 mb 14 tt1 0 r 0
	;; [unrolled: 1-line block ×4, first 2 shown]
ds_bpermute_b32 v133, v128, v133, offset:128       // permute edge values
ds_bpermute_b32 v134, v128, v134, offset:128       // permute edge values
	;; [unrolled: 1-line block ×4, first 2 shown]
s_waitcnt 0                                        // wait for swizzle operation
v_mov_b32 v104, v133                               // 
v_mov_b32 v105, v134                               // 
	;; [unrolled: 1-line block ×4, first 2 shown]
v_mov_b32 v133, v120                               // glvw 4 mb 14 tt1 1 r 0
v_mov_b32 v134, v121                               // glvw 4 mb 14 tt1 1 r 0
	;; [unrolled: 1-line block ×4, first 2 shown]
ds_bpermute_b32 v133, v128, v133, offset:128       // permute edge values
ds_bpermute_b32 v134, v128, v134, offset:128       // permute edge values
	;; [unrolled: 1-line block ×4, first 2 shown]
s_waitcnt 0                                        // wait for swizzle operation
v_mov_b32 v120, v133                               // 
v_mov_b32 v121, v134                               // 
v_mov_b32 v122, v135                               // 
v_mov_b32 v123, v136                               // 
s_mov_b64 s[32:33], 0xFFFFFFFFFFFFFFFF             // to restore all threads active
s_or_saveexec_b64 vcc, s[32:33]                    // all threads active
s_branch label_0302                                // done shifting


/******************************************/
/* shift d1 r=4 mb=15 vw0                 */
/******************************************/
label_0202: // r4 mb15 vw0 
s_mov_b32 s32, 15                                  // 
_v_cmpx_eq_u32 s[32:33], v132, s32                 // is thread in edge glvw region
v_and_b32 v128, 63, v[vgprSerial]                  // permute register between threads
v_lshlrev_b32 v128, 2, v128                        // permute register between threads
v_mov_b32 v133, v108                               // glvw 4 mb 15 tt1 0 r 0
v_mov_b32 v134, v109                               // glvw 4 mb 15 tt1 0 r 0
	;; [unrolled: 1-line block ×4, first 2 shown]
ds_bpermute_b32 v133, v128, v133, offset:128       // permute edge values
ds_bpermute_b32 v134, v128, v134, offset:128       // permute edge values
	;; [unrolled: 1-line block ×4, first 2 shown]
s_waitcnt 0                                        // wait for swizzle operation
v_mov_b32 v108, v133                               // 
v_mov_b32 v109, v134                               // 
	;; [unrolled: 1-line block ×4, first 2 shown]
v_mov_b32 v133, v124                               // glvw 4 mb 15 tt1 1 r 0
v_mov_b32 v134, v125                               // glvw 4 mb 15 tt1 1 r 0
	;; [unrolled: 1-line block ×4, first 2 shown]
ds_bpermute_b32 v133, v128, v133, offset:128       // permute edge values
ds_bpermute_b32 v134, v128, v134, offset:128       // permute edge values
	;; [unrolled: 1-line block ×4, first 2 shown]
s_waitcnt 0                                        // wait for swizzle operation
v_mov_b32 v124, v133                               // 
v_mov_b32 v125, v134                               // 
	;; [unrolled: 1-line block ×4, first 2 shown]
s_mov_b64 s[32:33], 0xFFFFFFFFFFFFFFFF             // to restore all threads active
s_or_saveexec_b64 vcc, s[32:33]                    // all threads active
s_branch label_0302                                // done shifting


/******************************************/
/* shift d1 r=5 mb=0 vw0                  */
/******************************************/
label_0205: // r5 mb0 vw0 
s_mov_b32 s32, 0                                   // 
_v_cmpx_eq_u32 s[32:33], v132, s32                 // is thread in edge glvw region
v_and_b32 v128, 63, v[vgprSerial]                  // permute register between threads
v_lshlrev_b32 v128, 2, v128                        // permute register between threads
v_mov_b32 v133, v3                                 // glvw 5 mb 0 tt1 0 r 0
v_mov_b32 v134, v0                                 // glvw 5 mb 0 tt1 0 r 0
	;; [unrolled: 1-line block ×4, first 2 shown]
ds_bpermute_b32 v134, v128, v134, offset:128       // permute edge values
ds_bpermute_b32 v135, v128, v135, offset:128       // permute edge values
	;; [unrolled: 1-line block ×3, first 2 shown]
s_waitcnt 0                                        // wait for swizzle operation
v_mov_b32 v0, v133                                 // 
v_mov_b32 v1, v134                                 // 
	;; [unrolled: 1-line block ×4, first 2 shown]
v_mov_b32 v133, v19                                // glvw 5 mb 0 tt1 1 r 0
v_mov_b32 v134, v16                                // glvw 5 mb 0 tt1 1 r 0
v_mov_b32 v135, v17                                // glvw 5 mb 0 tt1 1 r 0
v_mov_b32 v136, v18                                // glvw 5 mb 0 tt1 1 r 0
ds_bpermute_b32 v134, v128, v134, offset:128       // permute edge values
ds_bpermute_b32 v135, v128, v135, offset:128       // permute edge values
	;; [unrolled: 1-line block ×3, first 2 shown]
s_waitcnt 0                                        // wait for swizzle operation
v_mov_b32 v16, v133                                // 
v_mov_b32 v17, v134                                // 
	;; [unrolled: 1-line block ×4, first 2 shown]
s_mov_b64 s[32:33], 0xFFFFFFFFFFFFFFFF             // to restore all threads active
s_or_saveexec_b64 vcc, s[32:33]                    // all threads active
s_branch label_0302                                // done shifting


/******************************************/
/* shift d1 r=5 mb=1 vw0                  */
/******************************************/
label_0207: // r5 mb1 vw0 
s_mov_b32 s32, 1                                   // 
_v_cmpx_eq_u32 s[32:33], v132, s32                 // is thread in edge glvw region
v_and_b32 v128, 63, v[vgprSerial]                  // permute register between threads
v_lshlrev_b32 v128, 2, v128                        // permute register between threads
v_mov_b32 v133, v7                                 // glvw 5 mb 1 tt1 0 r 0
v_mov_b32 v134, v4                                 // glvw 5 mb 1 tt1 0 r 0
	;; [unrolled: 1-line block ×4, first 2 shown]
ds_bpermute_b32 v134, v128, v134, offset:128       // permute edge values
ds_bpermute_b32 v135, v128, v135, offset:128       // permute edge values
	;; [unrolled: 1-line block ×3, first 2 shown]
s_waitcnt 0                                        // wait for swizzle operation
v_mov_b32 v4, v133                                 // 
v_mov_b32 v5, v134                                 // 
	;; [unrolled: 1-line block ×4, first 2 shown]
v_mov_b32 v133, v23                                // glvw 5 mb 1 tt1 1 r 0
v_mov_b32 v134, v20                                // glvw 5 mb 1 tt1 1 r 0
	;; [unrolled: 1-line block ×4, first 2 shown]
ds_bpermute_b32 v134, v128, v134, offset:128       // permute edge values
ds_bpermute_b32 v135, v128, v135, offset:128       // permute edge values
	;; [unrolled: 1-line block ×3, first 2 shown]
s_waitcnt 0                                        // wait for swizzle operation
v_mov_b32 v20, v133                                // 
v_mov_b32 v21, v134                                // 
	;; [unrolled: 1-line block ×4, first 2 shown]
s_mov_b64 s[32:33], 0xFFFFFFFFFFFFFFFF             // to restore all threads active
s_or_saveexec_b64 vcc, s[32:33]                    // all threads active
s_branch label_0302                                // done shifting


/******************************************/
/* shift d1 r=5 mb=2 vw0                  */
/******************************************/
label_0209: // r5 mb2 vw0 
s_mov_b32 s32, 2                                   // 
_v_cmpx_eq_u32 s[32:33], v132, s32                 // is thread in edge glvw region
v_and_b32 v128, 63, v[vgprSerial]                  // permute register between threads
v_lshlrev_b32 v128, 2, v128                        // permute register between threads
v_mov_b32 v133, v11                                // glvw 5 mb 2 tt1 0 r 0
v_mov_b32 v134, v8                                 // glvw 5 mb 2 tt1 0 r 0
v_mov_b32 v135, v9                                 // glvw 5 mb 2 tt1 0 r 0
v_mov_b32 v136, v10                                // glvw 5 mb 2 tt1 0 r 0
ds_bpermute_b32 v134, v128, v134, offset:128       // permute edge values
ds_bpermute_b32 v135, v128, v135, offset:128       // permute edge values
	;; [unrolled: 1-line block ×3, first 2 shown]
s_waitcnt 0                                        // wait for swizzle operation
v_mov_b32 v8, v133                                 // 
v_mov_b32 v9, v134                                 // 
v_mov_b32 v10, v135                                // 
v_mov_b32 v11, v136                                // 
v_mov_b32 v133, v27                                // glvw 5 mb 2 tt1 1 r 0
v_mov_b32 v134, v24                                // glvw 5 mb 2 tt1 1 r 0
	;; [unrolled: 1-line block ×4, first 2 shown]
ds_bpermute_b32 v134, v128, v134, offset:128       // permute edge values
ds_bpermute_b32 v135, v128, v135, offset:128       // permute edge values
	;; [unrolled: 1-line block ×3, first 2 shown]
s_waitcnt 0                                        // wait for swizzle operation
v_mov_b32 v24, v133                                // 
v_mov_b32 v25, v134                                // 
	;; [unrolled: 1-line block ×4, first 2 shown]
s_mov_b64 s[32:33], 0xFFFFFFFFFFFFFFFF             // to restore all threads active
s_or_saveexec_b64 vcc, s[32:33]                    // all threads active
s_branch label_0302                                // done shifting


/******************************************/
/* shift d1 r=5 mb=3 vw0                  */
/******************************************/
label_0211: // r5 mb3 vw0 
s_mov_b32 s32, 3                                   // 
_v_cmpx_eq_u32 s[32:33], v132, s32                 // is thread in edge glvw region
v_and_b32 v128, 63, v[vgprSerial]                  // permute register between threads
v_lshlrev_b32 v128, 2, v128                        // permute register between threads
v_mov_b32 v133, v15                                // glvw 5 mb 3 tt1 0 r 0
v_mov_b32 v134, v12                                // glvw 5 mb 3 tt1 0 r 0
	;; [unrolled: 1-line block ×4, first 2 shown]
ds_bpermute_b32 v134, v128, v134, offset:128       // permute edge values
ds_bpermute_b32 v135, v128, v135, offset:128       // permute edge values
	;; [unrolled: 1-line block ×3, first 2 shown]
s_waitcnt 0                                        // wait for swizzle operation
v_mov_b32 v12, v133                                // 
v_mov_b32 v13, v134                                // 
	;; [unrolled: 1-line block ×4, first 2 shown]
v_mov_b32 v133, v31                                // glvw 5 mb 3 tt1 1 r 0
v_mov_b32 v134, v28                                // glvw 5 mb 3 tt1 1 r 0
	;; [unrolled: 1-line block ×4, first 2 shown]
ds_bpermute_b32 v134, v128, v134, offset:128       // permute edge values
ds_bpermute_b32 v135, v128, v135, offset:128       // permute edge values
	;; [unrolled: 1-line block ×3, first 2 shown]
s_waitcnt 0                                        // wait for swizzle operation
v_mov_b32 v28, v133                                // 
v_mov_b32 v29, v134                                // 
	;; [unrolled: 1-line block ×4, first 2 shown]
s_mov_b64 s[32:33], 0xFFFFFFFFFFFFFFFF             // to restore all threads active
s_or_saveexec_b64 vcc, s[32:33]                    // all threads active
s_branch label_0302                                // done shifting


/******************************************/
/* shift d1 r=5 mb=4 vw0                  */
/******************************************/
label_0213: // r5 mb4 vw0 
s_mov_b32 s32, 4                                   // 
_v_cmpx_eq_u32 s[32:33], v132, s32                 // is thread in edge glvw region
v_and_b32 v128, 63, v[vgprSerial]                  // permute register between threads
v_lshlrev_b32 v128, 2, v128                        // permute register between threads
v_mov_b32 v133, v35                                // glvw 5 mb 4 tt1 0 r 0
v_mov_b32 v134, v32                                // glvw 5 mb 4 tt1 0 r 0
	;; [unrolled: 1-line block ×4, first 2 shown]
ds_bpermute_b32 v134, v128, v134, offset:128       // permute edge values
ds_bpermute_b32 v135, v128, v135, offset:128       // permute edge values
	;; [unrolled: 1-line block ×3, first 2 shown]
s_waitcnt 0                                        // wait for swizzle operation
v_mov_b32 v32, v133                                // 
v_mov_b32 v33, v134                                // 
	;; [unrolled: 1-line block ×4, first 2 shown]
v_mov_b32 v133, v51                                // glvw 5 mb 4 tt1 1 r 0
v_mov_b32 v134, v48                                // glvw 5 mb 4 tt1 1 r 0
	;; [unrolled: 1-line block ×4, first 2 shown]
ds_bpermute_b32 v134, v128, v134, offset:128       // permute edge values
ds_bpermute_b32 v135, v128, v135, offset:128       // permute edge values
	;; [unrolled: 1-line block ×3, first 2 shown]
s_waitcnt 0                                        // wait for swizzle operation
v_mov_b32 v48, v133                                // 
v_mov_b32 v49, v134                                // 
	;; [unrolled: 1-line block ×4, first 2 shown]
s_mov_b64 s[32:33], 0xFFFFFFFFFFFFFFFF             // to restore all threads active
s_or_saveexec_b64 vcc, s[32:33]                    // all threads active
s_branch label_0302                                // done shifting


/******************************************/
/* shift d1 r=5 mb=5 vw0                  */
/******************************************/
label_0215: // r5 mb5 vw0 
s_mov_b32 s32, 5                                   // 
_v_cmpx_eq_u32 s[32:33], v132, s32                 // is thread in edge glvw region
v_and_b32 v128, 63, v[vgprSerial]                  // permute register between threads
v_lshlrev_b32 v128, 2, v128                        // permute register between threads
v_mov_b32 v133, v39                                // glvw 5 mb 5 tt1 0 r 0
v_mov_b32 v134, v36                                // glvw 5 mb 5 tt1 0 r 0
v_mov_b32 v135, v37                                // glvw 5 mb 5 tt1 0 r 0
v_mov_b32 v136, v38                                // glvw 5 mb 5 tt1 0 r 0
ds_bpermute_b32 v134, v128, v134, offset:128       // permute edge values
ds_bpermute_b32 v135, v128, v135, offset:128       // permute edge values
	;; [unrolled: 1-line block ×3, first 2 shown]
s_waitcnt 0                                        // wait for swizzle operation
v_mov_b32 v36, v133                                // 
v_mov_b32 v37, v134                                // 
	;; [unrolled: 1-line block ×4, first 2 shown]
v_mov_b32 v133, v55                                // glvw 5 mb 5 tt1 1 r 0
v_mov_b32 v134, v52                                // glvw 5 mb 5 tt1 1 r 0
	;; [unrolled: 1-line block ×4, first 2 shown]
ds_bpermute_b32 v134, v128, v134, offset:128       // permute edge values
ds_bpermute_b32 v135, v128, v135, offset:128       // permute edge values
	;; [unrolled: 1-line block ×3, first 2 shown]
s_waitcnt 0                                        // wait for swizzle operation
v_mov_b32 v52, v133                                // 
v_mov_b32 v53, v134                                // 
	;; [unrolled: 1-line block ×4, first 2 shown]
s_mov_b64 s[32:33], 0xFFFFFFFFFFFFFFFF             // to restore all threads active
s_or_saveexec_b64 vcc, s[32:33]                    // all threads active
s_branch label_0302                                // done shifting


/******************************************/
/* shift d1 r=5 mb=6 vw0                  */
/******************************************/
label_0217: // r5 mb6 vw0 
s_mov_b32 s32, 6                                   // 
_v_cmpx_eq_u32 s[32:33], v132, s32                 // is thread in edge glvw region
v_and_b32 v128, 63, v[vgprSerial]                  // permute register between threads
v_lshlrev_b32 v128, 2, v128                        // permute register between threads
v_mov_b32 v133, v43                                // glvw 5 mb 6 tt1 0 r 0
v_mov_b32 v134, v40                                // glvw 5 mb 6 tt1 0 r 0
	;; [unrolled: 1-line block ×4, first 2 shown]
ds_bpermute_b32 v134, v128, v134, offset:128       // permute edge values
ds_bpermute_b32 v135, v128, v135, offset:128       // permute edge values
	;; [unrolled: 1-line block ×3, first 2 shown]
s_waitcnt 0                                        // wait for swizzle operation
v_mov_b32 v40, v133                                // 
v_mov_b32 v41, v134                                // 
	;; [unrolled: 1-line block ×4, first 2 shown]
v_mov_b32 v133, v59                                // glvw 5 mb 6 tt1 1 r 0
v_mov_b32 v134, v56                                // glvw 5 mb 6 tt1 1 r 0
	;; [unrolled: 1-line block ×4, first 2 shown]
ds_bpermute_b32 v134, v128, v134, offset:128       // permute edge values
ds_bpermute_b32 v135, v128, v135, offset:128       // permute edge values
ds_bpermute_b32 v136, v128, v136, offset:128       // permute edge values
s_waitcnt 0                                        // wait for swizzle operation
v_mov_b32 v56, v133                                // 
v_mov_b32 v57, v134                                // 
	;; [unrolled: 1-line block ×4, first 2 shown]
s_mov_b64 s[32:33], 0xFFFFFFFFFFFFFFFF             // to restore all threads active
s_or_saveexec_b64 vcc, s[32:33]                    // all threads active
s_branch label_0302                                // done shifting


/******************************************/
/* shift d1 r=5 mb=7 vw0                  */
/******************************************/
label_0219: // r5 mb7 vw0 
s_mov_b32 s32, 7                                   // 
_v_cmpx_eq_u32 s[32:33], v132, s32                 // is thread in edge glvw region
v_and_b32 v128, 63, v[vgprSerial]                  // permute register between threads
v_lshlrev_b32 v128, 2, v128                        // permute register between threads
v_mov_b32 v133, v47                                // glvw 5 mb 7 tt1 0 r 0
v_mov_b32 v134, v44                                // glvw 5 mb 7 tt1 0 r 0
	;; [unrolled: 1-line block ×4, first 2 shown]
ds_bpermute_b32 v134, v128, v134, offset:128       // permute edge values
ds_bpermute_b32 v135, v128, v135, offset:128       // permute edge values
	;; [unrolled: 1-line block ×3, first 2 shown]
s_waitcnt 0                                        // wait for swizzle operation
v_mov_b32 v44, v133                                // 
v_mov_b32 v45, v134                                // 
	;; [unrolled: 1-line block ×4, first 2 shown]
v_mov_b32 v133, v63                                // glvw 5 mb 7 tt1 1 r 0
v_mov_b32 v134, v60                                // glvw 5 mb 7 tt1 1 r 0
	;; [unrolled: 1-line block ×4, first 2 shown]
ds_bpermute_b32 v134, v128, v134, offset:128       // permute edge values
ds_bpermute_b32 v135, v128, v135, offset:128       // permute edge values
	;; [unrolled: 1-line block ×3, first 2 shown]
s_waitcnt 0                                        // wait for swizzle operation
v_mov_b32 v60, v133                                // 
v_mov_b32 v61, v134                                // 
	;; [unrolled: 1-line block ×4, first 2 shown]
s_mov_b64 s[32:33], 0xFFFFFFFFFFFFFFFF             // to restore all threads active
s_or_saveexec_b64 vcc, s[32:33]                    // all threads active
s_branch label_0302                                // done shifting


/******************************************/
/* shift d1 r=5 mb=8 vw0                  */
/******************************************/
label_0221: // r5 mb8 vw0 
s_mov_b32 s32, 8                                   // 
_v_cmpx_eq_u32 s[32:33], v132, s32                 // is thread in edge glvw region
v_and_b32 v128, 63, v[vgprSerial]                  // permute register between threads
v_lshlrev_b32 v128, 2, v128                        // permute register between threads
v_mov_b32 v133, v67                                // glvw 5 mb 8 tt1 0 r 0
v_mov_b32 v134, v64                                // glvw 5 mb 8 tt1 0 r 0
v_mov_b32 v135, v65                                // glvw 5 mb 8 tt1 0 r 0
v_mov_b32 v136, v66                                // glvw 5 mb 8 tt1 0 r 0
ds_bpermute_b32 v134, v128, v134, offset:128       // permute edge values
ds_bpermute_b32 v135, v128, v135, offset:128       // permute edge values
	;; [unrolled: 1-line block ×3, first 2 shown]
s_waitcnt 0                                        // wait for swizzle operation
v_mov_b32 v64, v133                                // 
v_mov_b32 v65, v134                                // 
	;; [unrolled: 1-line block ×4, first 2 shown]
v_mov_b32 v133, v83                                // glvw 5 mb 8 tt1 1 r 0
v_mov_b32 v134, v80                                // glvw 5 mb 8 tt1 1 r 0
	;; [unrolled: 1-line block ×4, first 2 shown]
ds_bpermute_b32 v134, v128, v134, offset:128       // permute edge values
ds_bpermute_b32 v135, v128, v135, offset:128       // permute edge values
	;; [unrolled: 1-line block ×3, first 2 shown]
s_waitcnt 0                                        // wait for swizzle operation
v_mov_b32 v80, v133                                // 
v_mov_b32 v81, v134                                // 
	;; [unrolled: 1-line block ×4, first 2 shown]
s_mov_b64 s[32:33], 0xFFFFFFFFFFFFFFFF             // to restore all threads active
s_or_saveexec_b64 vcc, s[32:33]                    // all threads active
s_branch label_0302                                // done shifting


/******************************************/
/* shift d1 r=5 mb=9 vw0                  */
/******************************************/
label_0223: // r5 mb9 vw0 
s_mov_b32 s32, 9                                   // 
_v_cmpx_eq_u32 s[32:33], v132, s32                 // is thread in edge glvw region
v_and_b32 v128, 63, v[vgprSerial]                  // permute register between threads
v_lshlrev_b32 v128, 2, v128                        // permute register between threads
v_mov_b32 v133, v71                                // glvw 5 mb 9 tt1 0 r 0
v_mov_b32 v134, v68                                // glvw 5 mb 9 tt1 0 r 0
	;; [unrolled: 1-line block ×4, first 2 shown]
ds_bpermute_b32 v134, v128, v134, offset:128       // permute edge values
ds_bpermute_b32 v135, v128, v135, offset:128       // permute edge values
	;; [unrolled: 1-line block ×3, first 2 shown]
s_waitcnt 0                                        // wait for swizzle operation
v_mov_b32 v68, v133                                // 
v_mov_b32 v69, v134                                // 
	;; [unrolled: 1-line block ×4, first 2 shown]
v_mov_b32 v133, v87                                // glvw 5 mb 9 tt1 1 r 0
v_mov_b32 v134, v84                                // glvw 5 mb 9 tt1 1 r 0
	;; [unrolled: 1-line block ×4, first 2 shown]
ds_bpermute_b32 v134, v128, v134, offset:128       // permute edge values
ds_bpermute_b32 v135, v128, v135, offset:128       // permute edge values
	;; [unrolled: 1-line block ×3, first 2 shown]
s_waitcnt 0                                        // wait for swizzle operation
v_mov_b32 v84, v133                                // 
v_mov_b32 v85, v134                                // 
	;; [unrolled: 1-line block ×4, first 2 shown]
s_mov_b64 s[32:33], 0xFFFFFFFFFFFFFFFF             // to restore all threads active
s_or_saveexec_b64 vcc, s[32:33]                    // all threads active
s_branch label_0302                                // done shifting


/******************************************/
/* shift d1 r=5 mb=10 vw0                 */
/******************************************/
label_0225: // r5 mb10 vw0 
s_mov_b32 s32, 10                                  // 
_v_cmpx_eq_u32 s[32:33], v132, s32                 // is thread in edge glvw region
v_and_b32 v128, 63, v[vgprSerial]                  // permute register between threads
v_lshlrev_b32 v128, 2, v128                        // permute register between threads
v_mov_b32 v133, v75                                // glvw 5 mb 10 tt1 0 r 0
v_mov_b32 v134, v72                                // glvw 5 mb 10 tt1 0 r 0
	;; [unrolled: 1-line block ×4, first 2 shown]
ds_bpermute_b32 v134, v128, v134, offset:128       // permute edge values
ds_bpermute_b32 v135, v128, v135, offset:128       // permute edge values
	;; [unrolled: 1-line block ×3, first 2 shown]
s_waitcnt 0                                        // wait for swizzle operation
v_mov_b32 v72, v133                                // 
v_mov_b32 v73, v134                                // 
	;; [unrolled: 1-line block ×4, first 2 shown]
v_mov_b32 v133, v91                                // glvw 5 mb 10 tt1 1 r 0
v_mov_b32 v134, v88                                // glvw 5 mb 10 tt1 1 r 0
	;; [unrolled: 1-line block ×4, first 2 shown]
ds_bpermute_b32 v134, v128, v134, offset:128       // permute edge values
ds_bpermute_b32 v135, v128, v135, offset:128       // permute edge values
	;; [unrolled: 1-line block ×3, first 2 shown]
s_waitcnt 0                                        // wait for swizzle operation
v_mov_b32 v88, v133                                // 
v_mov_b32 v89, v134                                // 
	;; [unrolled: 1-line block ×4, first 2 shown]
s_mov_b64 s[32:33], 0xFFFFFFFFFFFFFFFF             // to restore all threads active
s_or_saveexec_b64 vcc, s[32:33]                    // all threads active
s_branch label_0302                                // done shifting


/******************************************/
/* shift d1 r=5 mb=11 vw0                 */
/******************************************/
label_0227: // r5 mb11 vw0 
s_mov_b32 s32, 11                                  // 
_v_cmpx_eq_u32 s[32:33], v132, s32                 // is thread in edge glvw region
v_and_b32 v128, 63, v[vgprSerial]                  // permute register between threads
v_lshlrev_b32 v128, 2, v128                        // permute register between threads
v_mov_b32 v133, v79                                // glvw 5 mb 11 tt1 0 r 0
v_mov_b32 v134, v76                                // glvw 5 mb 11 tt1 0 r 0
	;; [unrolled: 1-line block ×4, first 2 shown]
ds_bpermute_b32 v134, v128, v134, offset:128       // permute edge values
ds_bpermute_b32 v135, v128, v135, offset:128       // permute edge values
	;; [unrolled: 1-line block ×3, first 2 shown]
s_waitcnt 0                                        // wait for swizzle operation
v_mov_b32 v76, v133                                // 
v_mov_b32 v77, v134                                // 
	;; [unrolled: 1-line block ×4, first 2 shown]
v_mov_b32 v133, v95                                // glvw 5 mb 11 tt1 1 r 0
v_mov_b32 v134, v92                                // glvw 5 mb 11 tt1 1 r 0
	;; [unrolled: 1-line block ×4, first 2 shown]
ds_bpermute_b32 v134, v128, v134, offset:128       // permute edge values
ds_bpermute_b32 v135, v128, v135, offset:128       // permute edge values
	;; [unrolled: 1-line block ×3, first 2 shown]
s_waitcnt 0                                        // wait for swizzle operation
v_mov_b32 v92, v133                                // 
v_mov_b32 v93, v134                                // 
	;; [unrolled: 1-line block ×4, first 2 shown]
s_mov_b64 s[32:33], 0xFFFFFFFFFFFFFFFF             // to restore all threads active
s_or_saveexec_b64 vcc, s[32:33]                    // all threads active
s_branch label_0302                                // done shifting


/******************************************/
/* shift d1 r=5 mb=12 vw0                 */
/******************************************/
label_0229: // r5 mb12 vw0 
s_mov_b32 s32, 12                                  // 
_v_cmpx_eq_u32 s[32:33], v132, s32                 // is thread in edge glvw region
v_and_b32 v128, 63, v[vgprSerial]                  // permute register between threads
v_lshlrev_b32 v128, 2, v128                        // permute register between threads
v_mov_b32 v133, v99                                // glvw 5 mb 12 tt1 0 r 0
v_mov_b32 v134, v96                                // glvw 5 mb 12 tt1 0 r 0
	;; [unrolled: 1-line block ×4, first 2 shown]
ds_bpermute_b32 v134, v128, v134, offset:128       // permute edge values
ds_bpermute_b32 v135, v128, v135, offset:128       // permute edge values
	;; [unrolled: 1-line block ×3, first 2 shown]
s_waitcnt 0                                        // wait for swizzle operation
v_mov_b32 v96, v133                                // 
v_mov_b32 v97, v134                                // 
	;; [unrolled: 1-line block ×4, first 2 shown]
v_mov_b32 v133, v115                               // glvw 5 mb 12 tt1 1 r 0
v_mov_b32 v134, v112                               // glvw 5 mb 12 tt1 1 r 0
v_mov_b32 v135, v113                               // glvw 5 mb 12 tt1 1 r 0
v_mov_b32 v136, v114                               // glvw 5 mb 12 tt1 1 r 0
ds_bpermute_b32 v134, v128, v134, offset:128       // permute edge values
ds_bpermute_b32 v135, v128, v135, offset:128       // permute edge values
	;; [unrolled: 1-line block ×3, first 2 shown]
s_waitcnt 0                                        // wait for swizzle operation
v_mov_b32 v112, v133                               // 
v_mov_b32 v113, v134                               // 
	;; [unrolled: 1-line block ×4, first 2 shown]
s_mov_b64 s[32:33], 0xFFFFFFFFFFFFFFFF             // to restore all threads active
s_or_saveexec_b64 vcc, s[32:33]                    // all threads active
s_branch label_0302                                // done shifting


/******************************************/
/* shift d1 r=5 mb=13 vw0                 */
/******************************************/
label_0231: // r5 mb13 vw0 
s_mov_b32 s32, 13                                  // 
_v_cmpx_eq_u32 s[32:33], v132, s32                 // is thread in edge glvw region
v_and_b32 v128, 63, v[vgprSerial]                  // permute register between threads
v_lshlrev_b32 v128, 2, v128                        // permute register between threads
v_mov_b32 v133, v103                               // glvw 5 mb 13 tt1 0 r 0
v_mov_b32 v134, v100                               // glvw 5 mb 13 tt1 0 r 0
	;; [unrolled: 1-line block ×4, first 2 shown]
ds_bpermute_b32 v134, v128, v134, offset:128       // permute edge values
ds_bpermute_b32 v135, v128, v135, offset:128       // permute edge values
	;; [unrolled: 1-line block ×3, first 2 shown]
s_waitcnt 0                                        // wait for swizzle operation
v_mov_b32 v100, v133                               // 
v_mov_b32 v101, v134                               // 
	;; [unrolled: 1-line block ×4, first 2 shown]
v_mov_b32 v133, v119                               // glvw 5 mb 13 tt1 1 r 0
v_mov_b32 v134, v116                               // glvw 5 mb 13 tt1 1 r 0
	;; [unrolled: 1-line block ×4, first 2 shown]
ds_bpermute_b32 v134, v128, v134, offset:128       // permute edge values
ds_bpermute_b32 v135, v128, v135, offset:128       // permute edge values
	;; [unrolled: 1-line block ×3, first 2 shown]
s_waitcnt 0                                        // wait for swizzle operation
v_mov_b32 v116, v133                               // 
v_mov_b32 v117, v134                               // 
	;; [unrolled: 1-line block ×4, first 2 shown]
s_mov_b64 s[32:33], 0xFFFFFFFFFFFFFFFF             // to restore all threads active
s_or_saveexec_b64 vcc, s[32:33]                    // all threads active
s_branch label_0302                                // done shifting


/******************************************/
/* shift d1 r=5 mb=14 vw0                 */
/******************************************/
label_0233: // r5 mb14 vw0 
s_mov_b32 s32, 14                                  // 
_v_cmpx_eq_u32 s[32:33], v132, s32                 // is thread in edge glvw region
v_and_b32 v128, 63, v[vgprSerial]                  // permute register between threads
v_lshlrev_b32 v128, 2, v128                        // permute register between threads
v_mov_b32 v133, v107                               // glvw 5 mb 14 tt1 0 r 0
v_mov_b32 v134, v104                               // glvw 5 mb 14 tt1 0 r 0
	;; [unrolled: 1-line block ×4, first 2 shown]
ds_bpermute_b32 v134, v128, v134, offset:128       // permute edge values
ds_bpermute_b32 v135, v128, v135, offset:128       // permute edge values
	;; [unrolled: 1-line block ×3, first 2 shown]
s_waitcnt 0                                        // wait for swizzle operation
v_mov_b32 v104, v133                               // 
v_mov_b32 v105, v134                               // 
v_mov_b32 v106, v135                               // 
v_mov_b32 v107, v136                               // 
v_mov_b32 v133, v123                               // glvw 5 mb 14 tt1 1 r 0
v_mov_b32 v134, v120                               // glvw 5 mb 14 tt1 1 r 0
	;; [unrolled: 1-line block ×4, first 2 shown]
ds_bpermute_b32 v134, v128, v134, offset:128       // permute edge values
ds_bpermute_b32 v135, v128, v135, offset:128       // permute edge values
	;; [unrolled: 1-line block ×3, first 2 shown]
s_waitcnt 0                                        // wait for swizzle operation
v_mov_b32 v120, v133                               // 
v_mov_b32 v121, v134                               // 
	;; [unrolled: 1-line block ×4, first 2 shown]
s_mov_b64 s[32:33], 0xFFFFFFFFFFFFFFFF             // to restore all threads active
s_or_saveexec_b64 vcc, s[32:33]                    // all threads active
s_branch label_0302                                // done shifting


/******************************************/
/* shift d1 r=5 mb=15 vw0                 */
/******************************************/
label_0235: // r5 mb15 vw0 
s_mov_b32 s32, 15                                  // 
_v_cmpx_eq_u32 s[32:33], v132, s32                 // is thread in edge glvw region
v_and_b32 v128, 63, v[vgprSerial]                  // permute register between threads
v_lshlrev_b32 v128, 2, v128                        // permute register between threads
v_mov_b32 v133, v111                               // glvw 5 mb 15 tt1 0 r 0
v_mov_b32 v134, v108                               // glvw 5 mb 15 tt1 0 r 0
	;; [unrolled: 1-line block ×4, first 2 shown]
ds_bpermute_b32 v134, v128, v134, offset:128       // permute edge values
ds_bpermute_b32 v135, v128, v135, offset:128       // permute edge values
ds_bpermute_b32 v136, v128, v136, offset:128       // permute edge values
s_waitcnt 0                                        // wait for swizzle operation
v_mov_b32 v108, v133                               // 
v_mov_b32 v109, v134                               // 
	;; [unrolled: 1-line block ×4, first 2 shown]
v_mov_b32 v133, v127                               // glvw 5 mb 15 tt1 1 r 0
v_mov_b32 v134, v124                               // glvw 5 mb 15 tt1 1 r 0
	;; [unrolled: 1-line block ×4, first 2 shown]
ds_bpermute_b32 v134, v128, v134, offset:128       // permute edge values
ds_bpermute_b32 v135, v128, v135, offset:128       // permute edge values
	;; [unrolled: 1-line block ×3, first 2 shown]
s_waitcnt 0                                        // wait for swizzle operation
v_mov_b32 v124, v133                               // 
v_mov_b32 v125, v134                               // 
	;; [unrolled: 1-line block ×4, first 2 shown]
s_mov_b64 s[32:33], 0xFFFFFFFFFFFFFFFF             // to restore all threads active
s_or_saveexec_b64 vcc, s[32:33]                    // all threads active
s_branch label_0302                                // done shifting


/******************************************/
/* shift d1 r=6 mb=0 vw0                  */
/******************************************/
label_0238: // r6 mb0 vw0 
s_mov_b32 s32, 0                                   // 
_v_cmpx_eq_u32 s[32:33], v132, s32                 // is thread in edge glvw region
v_and_b32 v128, 63, v[vgprSerial]                  // permute register between threads
v_lshlrev_b32 v128, 2, v128                        // permute register between threads
v_mov_b32 v133, v2                                 // glvw 6 mb 0 tt1 0 r 0
v_mov_b32 v134, v3                                 // glvw 6 mb 0 tt1 0 r 0
	;; [unrolled: 1-line block ×4, first 2 shown]
ds_bpermute_b32 v135, v128, v135, offset:128       // permute edge values
ds_bpermute_b32 v136, v128, v136, offset:128       // permute edge values
s_waitcnt 0                                        // wait for swizzle operation
v_mov_b32 v0, v133                                 // 
v_mov_b32 v1, v134                                 // 
	;; [unrolled: 1-line block ×4, first 2 shown]
v_mov_b32 v133, v18                                // glvw 6 mb 0 tt1 1 r 0
v_mov_b32 v134, v19                                // glvw 6 mb 0 tt1 1 r 0
	;; [unrolled: 1-line block ×4, first 2 shown]
ds_bpermute_b32 v135, v128, v135, offset:128       // permute edge values
ds_bpermute_b32 v136, v128, v136, offset:128       // permute edge values
s_waitcnt 0                                        // wait for swizzle operation
v_mov_b32 v16, v133                                // 
v_mov_b32 v17, v134                                // 
	;; [unrolled: 1-line block ×4, first 2 shown]
s_mov_b64 s[32:33], 0xFFFFFFFFFFFFFFFF             // to restore all threads active
s_or_saveexec_b64 vcc, s[32:33]                    // all threads active
s_branch label_0302                                // done shifting


/******************************************/
/* shift d1 r=6 mb=1 vw0                  */
/******************************************/
label_0240: // r6 mb1 vw0 
s_mov_b32 s32, 1                                   // 
_v_cmpx_eq_u32 s[32:33], v132, s32                 // is thread in edge glvw region
v_and_b32 v128, 63, v[vgprSerial]                  // permute register between threads
v_lshlrev_b32 v128, 2, v128                        // permute register between threads
v_mov_b32 v133, v6                                 // glvw 6 mb 1 tt1 0 r 0
v_mov_b32 v134, v7                                 // glvw 6 mb 1 tt1 0 r 0
	;; [unrolled: 1-line block ×4, first 2 shown]
ds_bpermute_b32 v135, v128, v135, offset:128       // permute edge values
ds_bpermute_b32 v136, v128, v136, offset:128       // permute edge values
s_waitcnt 0                                        // wait for swizzle operation
v_mov_b32 v4, v133                                 // 
v_mov_b32 v5, v134                                 // 
	;; [unrolled: 1-line block ×4, first 2 shown]
v_mov_b32 v133, v22                                // glvw 6 mb 1 tt1 1 r 0
v_mov_b32 v134, v23                                // glvw 6 mb 1 tt1 1 r 0
	;; [unrolled: 1-line block ×4, first 2 shown]
ds_bpermute_b32 v135, v128, v135, offset:128       // permute edge values
ds_bpermute_b32 v136, v128, v136, offset:128       // permute edge values
s_waitcnt 0                                        // wait for swizzle operation
v_mov_b32 v20, v133                                // 
v_mov_b32 v21, v134                                // 
	;; [unrolled: 1-line block ×4, first 2 shown]
s_mov_b64 s[32:33], 0xFFFFFFFFFFFFFFFF             // to restore all threads active
s_or_saveexec_b64 vcc, s[32:33]                    // all threads active
s_branch label_0302                                // done shifting


/******************************************/
/* shift d1 r=6 mb=2 vw0                  */
/******************************************/
label_0242: // r6 mb2 vw0 
s_mov_b32 s32, 2                                   // 
_v_cmpx_eq_u32 s[32:33], v132, s32                 // is thread in edge glvw region
v_and_b32 v128, 63, v[vgprSerial]                  // permute register between threads
v_lshlrev_b32 v128, 2, v128                        // permute register between threads
v_mov_b32 v133, v10                                // glvw 6 mb 2 tt1 0 r 0
v_mov_b32 v134, v11                                // glvw 6 mb 2 tt1 0 r 0
v_mov_b32 v135, v8                                 // glvw 6 mb 2 tt1 0 r 0
v_mov_b32 v136, v9                                 // glvw 6 mb 2 tt1 0 r 0
ds_bpermute_b32 v135, v128, v135, offset:128       // permute edge values
ds_bpermute_b32 v136, v128, v136, offset:128       // permute edge values
s_waitcnt 0                                        // wait for swizzle operation
v_mov_b32 v8, v133                                 // 
v_mov_b32 v9, v134                                 // 
v_mov_b32 v10, v135                                // 
v_mov_b32 v11, v136                                // 
v_mov_b32 v133, v26                                // glvw 6 mb 2 tt1 1 r 0
v_mov_b32 v134, v27                                // glvw 6 mb 2 tt1 1 r 0
	;; [unrolled: 1-line block ×4, first 2 shown]
ds_bpermute_b32 v135, v128, v135, offset:128       // permute edge values
ds_bpermute_b32 v136, v128, v136, offset:128       // permute edge values
s_waitcnt 0                                        // wait for swizzle operation
v_mov_b32 v24, v133                                // 
v_mov_b32 v25, v134                                // 
	;; [unrolled: 1-line block ×4, first 2 shown]
s_mov_b64 s[32:33], 0xFFFFFFFFFFFFFFFF             // to restore all threads active
s_or_saveexec_b64 vcc, s[32:33]                    // all threads active
s_branch label_0302                                // done shifting


/******************************************/
/* shift d1 r=6 mb=3 vw0                  */
/******************************************/
label_0244: // r6 mb3 vw0 
s_mov_b32 s32, 3                                   // 
_v_cmpx_eq_u32 s[32:33], v132, s32                 // is thread in edge glvw region
v_and_b32 v128, 63, v[vgprSerial]                  // permute register between threads
v_lshlrev_b32 v128, 2, v128                        // permute register between threads
v_mov_b32 v133, v14                                // glvw 6 mb 3 tt1 0 r 0
v_mov_b32 v134, v15                                // glvw 6 mb 3 tt1 0 r 0
v_mov_b32 v135, v12                                // glvw 6 mb 3 tt1 0 r 0
v_mov_b32 v136, v13                                // glvw 6 mb 3 tt1 0 r 0
ds_bpermute_b32 v135, v128, v135, offset:128       // permute edge values
ds_bpermute_b32 v136, v128, v136, offset:128       // permute edge values
s_waitcnt 0                                        // wait for swizzle operation
v_mov_b32 v12, v133                                // 
v_mov_b32 v13, v134                                // 
	;; [unrolled: 1-line block ×4, first 2 shown]
v_mov_b32 v133, v30                                // glvw 6 mb 3 tt1 1 r 0
v_mov_b32 v134, v31                                // glvw 6 mb 3 tt1 1 r 0
	;; [unrolled: 1-line block ×4, first 2 shown]
ds_bpermute_b32 v135, v128, v135, offset:128       // permute edge values
ds_bpermute_b32 v136, v128, v136, offset:128       // permute edge values
s_waitcnt 0                                        // wait for swizzle operation
v_mov_b32 v28, v133                                // 
v_mov_b32 v29, v134                                // 
v_mov_b32 v30, v135                                // 
v_mov_b32 v31, v136                                // 
s_mov_b64 s[32:33], 0xFFFFFFFFFFFFFFFF             // to restore all threads active
s_or_saveexec_b64 vcc, s[32:33]                    // all threads active
s_branch label_0302                                // done shifting


/******************************************/
/* shift d1 r=6 mb=4 vw0                  */
/******************************************/
label_0246: // r6 mb4 vw0 
s_mov_b32 s32, 4                                   // 
_v_cmpx_eq_u32 s[32:33], v132, s32                 // is thread in edge glvw region
v_and_b32 v128, 63, v[vgprSerial]                  // permute register between threads
v_lshlrev_b32 v128, 2, v128                        // permute register between threads
v_mov_b32 v133, v34                                // glvw 6 mb 4 tt1 0 r 0
v_mov_b32 v134, v35                                // glvw 6 mb 4 tt1 0 r 0
	;; [unrolled: 1-line block ×4, first 2 shown]
ds_bpermute_b32 v135, v128, v135, offset:128       // permute edge values
ds_bpermute_b32 v136, v128, v136, offset:128       // permute edge values
s_waitcnt 0                                        // wait for swizzle operation
v_mov_b32 v32, v133                                // 
v_mov_b32 v33, v134                                // 
	;; [unrolled: 1-line block ×4, first 2 shown]
v_mov_b32 v133, v50                                // glvw 6 mb 4 tt1 1 r 0
v_mov_b32 v134, v51                                // glvw 6 mb 4 tt1 1 r 0
	;; [unrolled: 1-line block ×4, first 2 shown]
ds_bpermute_b32 v135, v128, v135, offset:128       // permute edge values
ds_bpermute_b32 v136, v128, v136, offset:128       // permute edge values
s_waitcnt 0                                        // wait for swizzle operation
v_mov_b32 v48, v133                                // 
v_mov_b32 v49, v134                                // 
	;; [unrolled: 1-line block ×4, first 2 shown]
s_mov_b64 s[32:33], 0xFFFFFFFFFFFFFFFF             // to restore all threads active
s_or_saveexec_b64 vcc, s[32:33]                    // all threads active
s_branch label_0302                                // done shifting


/******************************************/
/* shift d1 r=6 mb=5 vw0                  */
/******************************************/
label_0248: // r6 mb5 vw0 
s_mov_b32 s32, 5                                   // 
_v_cmpx_eq_u32 s[32:33], v132, s32                 // is thread in edge glvw region
v_and_b32 v128, 63, v[vgprSerial]                  // permute register between threads
v_lshlrev_b32 v128, 2, v128                        // permute register between threads
v_mov_b32 v133, v38                                // glvw 6 mb 5 tt1 0 r 0
v_mov_b32 v134, v39                                // glvw 6 mb 5 tt1 0 r 0
	;; [unrolled: 1-line block ×4, first 2 shown]
ds_bpermute_b32 v135, v128, v135, offset:128       // permute edge values
ds_bpermute_b32 v136, v128, v136, offset:128       // permute edge values
s_waitcnt 0                                        // wait for swizzle operation
v_mov_b32 v36, v133                                // 
v_mov_b32 v37, v134                                // 
	;; [unrolled: 1-line block ×4, first 2 shown]
v_mov_b32 v133, v54                                // glvw 6 mb 5 tt1 1 r 0
v_mov_b32 v134, v55                                // glvw 6 mb 5 tt1 1 r 0
	;; [unrolled: 1-line block ×4, first 2 shown]
ds_bpermute_b32 v135, v128, v135, offset:128       // permute edge values
ds_bpermute_b32 v136, v128, v136, offset:128       // permute edge values
s_waitcnt 0                                        // wait for swizzle operation
v_mov_b32 v52, v133                                // 
v_mov_b32 v53, v134                                // 
	;; [unrolled: 1-line block ×4, first 2 shown]
s_mov_b64 s[32:33], 0xFFFFFFFFFFFFFFFF             // to restore all threads active
s_or_saveexec_b64 vcc, s[32:33]                    // all threads active
s_branch label_0302                                // done shifting


/******************************************/
/* shift d1 r=6 mb=6 vw0                  */
/******************************************/
label_0250: // r6 mb6 vw0 
s_mov_b32 s32, 6                                   // 
_v_cmpx_eq_u32 s[32:33], v132, s32                 // is thread in edge glvw region
v_and_b32 v128, 63, v[vgprSerial]                  // permute register between threads
v_lshlrev_b32 v128, 2, v128                        // permute register between threads
v_mov_b32 v133, v42                                // glvw 6 mb 6 tt1 0 r 0
v_mov_b32 v134, v43                                // glvw 6 mb 6 tt1 0 r 0
	;; [unrolled: 1-line block ×4, first 2 shown]
ds_bpermute_b32 v135, v128, v135, offset:128       // permute edge values
ds_bpermute_b32 v136, v128, v136, offset:128       // permute edge values
s_waitcnt 0                                        // wait for swizzle operation
v_mov_b32 v40, v133                                // 
v_mov_b32 v41, v134                                // 
	;; [unrolled: 1-line block ×4, first 2 shown]
v_mov_b32 v133, v58                                // glvw 6 mb 6 tt1 1 r 0
v_mov_b32 v134, v59                                // glvw 6 mb 6 tt1 1 r 0
	;; [unrolled: 1-line block ×4, first 2 shown]
ds_bpermute_b32 v135, v128, v135, offset:128       // permute edge values
ds_bpermute_b32 v136, v128, v136, offset:128       // permute edge values
s_waitcnt 0                                        // wait for swizzle operation
v_mov_b32 v56, v133                                // 
v_mov_b32 v57, v134                                // 
	;; [unrolled: 1-line block ×4, first 2 shown]
s_mov_b64 s[32:33], 0xFFFFFFFFFFFFFFFF             // to restore all threads active
s_or_saveexec_b64 vcc, s[32:33]                    // all threads active
s_branch label_0302                                // done shifting


/******************************************/
/* shift d1 r=6 mb=7 vw0                  */
/******************************************/
label_0252: // r6 mb7 vw0 
s_mov_b32 s32, 7                                   // 
_v_cmpx_eq_u32 s[32:33], v132, s32                 // is thread in edge glvw region
v_and_b32 v128, 63, v[vgprSerial]                  // permute register between threads
v_lshlrev_b32 v128, 2, v128                        // permute register between threads
v_mov_b32 v133, v46                                // glvw 6 mb 7 tt1 0 r 0
v_mov_b32 v134, v47                                // glvw 6 mb 7 tt1 0 r 0
	;; [unrolled: 1-line block ×4, first 2 shown]
ds_bpermute_b32 v135, v128, v135, offset:128       // permute edge values
ds_bpermute_b32 v136, v128, v136, offset:128       // permute edge values
s_waitcnt 0                                        // wait for swizzle operation
v_mov_b32 v44, v133                                // 
v_mov_b32 v45, v134                                // 
v_mov_b32 v46, v135                                // 
v_mov_b32 v47, v136                                // 
v_mov_b32 v133, v62                                // glvw 6 mb 7 tt1 1 r 0
v_mov_b32 v134, v63                                // glvw 6 mb 7 tt1 1 r 0
	;; [unrolled: 1-line block ×4, first 2 shown]
ds_bpermute_b32 v135, v128, v135, offset:128       // permute edge values
ds_bpermute_b32 v136, v128, v136, offset:128       // permute edge values
s_waitcnt 0                                        // wait for swizzle operation
v_mov_b32 v60, v133                                // 
v_mov_b32 v61, v134                                // 
	;; [unrolled: 1-line block ×4, first 2 shown]
s_mov_b64 s[32:33], 0xFFFFFFFFFFFFFFFF             // to restore all threads active
s_or_saveexec_b64 vcc, s[32:33]                    // all threads active
s_branch label_0302                                // done shifting


/******************************************/
/* shift d1 r=6 mb=8 vw0                  */
/******************************************/
label_0254: // r6 mb8 vw0 
s_mov_b32 s32, 8                                   // 
_v_cmpx_eq_u32 s[32:33], v132, s32                 // is thread in edge glvw region
v_and_b32 v128, 63, v[vgprSerial]                  // permute register between threads
v_lshlrev_b32 v128, 2, v128                        // permute register between threads
v_mov_b32 v133, v66                                // glvw 6 mb 8 tt1 0 r 0
v_mov_b32 v134, v67                                // glvw 6 mb 8 tt1 0 r 0
	;; [unrolled: 1-line block ×4, first 2 shown]
ds_bpermute_b32 v135, v128, v135, offset:128       // permute edge values
ds_bpermute_b32 v136, v128, v136, offset:128       // permute edge values
s_waitcnt 0                                        // wait for swizzle operation
v_mov_b32 v64, v133                                // 
v_mov_b32 v65, v134                                // 
	;; [unrolled: 1-line block ×4, first 2 shown]
v_mov_b32 v133, v82                                // glvw 6 mb 8 tt1 1 r 0
v_mov_b32 v134, v83                                // glvw 6 mb 8 tt1 1 r 0
	;; [unrolled: 1-line block ×4, first 2 shown]
ds_bpermute_b32 v135, v128, v135, offset:128       // permute edge values
ds_bpermute_b32 v136, v128, v136, offset:128       // permute edge values
s_waitcnt 0                                        // wait for swizzle operation
v_mov_b32 v80, v133                                // 
v_mov_b32 v81, v134                                // 
	;; [unrolled: 1-line block ×4, first 2 shown]
s_mov_b64 s[32:33], 0xFFFFFFFFFFFFFFFF             // to restore all threads active
s_or_saveexec_b64 vcc, s[32:33]                    // all threads active
s_branch label_0302                                // done shifting


/******************************************/
/* shift d1 r=6 mb=9 vw0                  */
/******************************************/
label_0256: // r6 mb9 vw0 
s_mov_b32 s32, 9                                   // 
_v_cmpx_eq_u32 s[32:33], v132, s32                 // is thread in edge glvw region
v_and_b32 v128, 63, v[vgprSerial]                  // permute register between threads
v_lshlrev_b32 v128, 2, v128                        // permute register between threads
v_mov_b32 v133, v70                                // glvw 6 mb 9 tt1 0 r 0
v_mov_b32 v134, v71                                // glvw 6 mb 9 tt1 0 r 0
	;; [unrolled: 1-line block ×4, first 2 shown]
ds_bpermute_b32 v135, v128, v135, offset:128       // permute edge values
ds_bpermute_b32 v136, v128, v136, offset:128       // permute edge values
s_waitcnt 0                                        // wait for swizzle operation
v_mov_b32 v68, v133                                // 
v_mov_b32 v69, v134                                // 
	;; [unrolled: 1-line block ×4, first 2 shown]
v_mov_b32 v133, v86                                // glvw 6 mb 9 tt1 1 r 0
v_mov_b32 v134, v87                                // glvw 6 mb 9 tt1 1 r 0
v_mov_b32 v135, v84                                // glvw 6 mb 9 tt1 1 r 0
v_mov_b32 v136, v85                                // glvw 6 mb 9 tt1 1 r 0
ds_bpermute_b32 v135, v128, v135, offset:128       // permute edge values
ds_bpermute_b32 v136, v128, v136, offset:128       // permute edge values
s_waitcnt 0                                        // wait for swizzle operation
v_mov_b32 v84, v133                                // 
v_mov_b32 v85, v134                                // 
	;; [unrolled: 1-line block ×4, first 2 shown]
s_mov_b64 s[32:33], 0xFFFFFFFFFFFFFFFF             // to restore all threads active
s_or_saveexec_b64 vcc, s[32:33]                    // all threads active
s_branch label_0302                                // done shifting


/******************************************/
/* shift d1 r=6 mb=10 vw0                 */
/******************************************/
label_0258: // r6 mb10 vw0 
s_mov_b32 s32, 10                                  // 
_v_cmpx_eq_u32 s[32:33], v132, s32                 // is thread in edge glvw region
v_and_b32 v128, 63, v[vgprSerial]                  // permute register between threads
v_lshlrev_b32 v128, 2, v128                        // permute register between threads
v_mov_b32 v133, v74                                // glvw 6 mb 10 tt1 0 r 0
v_mov_b32 v134, v75                                // glvw 6 mb 10 tt1 0 r 0
	;; [unrolled: 1-line block ×4, first 2 shown]
ds_bpermute_b32 v135, v128, v135, offset:128       // permute edge values
ds_bpermute_b32 v136, v128, v136, offset:128       // permute edge values
s_waitcnt 0                                        // wait for swizzle operation
v_mov_b32 v72, v133                                // 
v_mov_b32 v73, v134                                // 
	;; [unrolled: 1-line block ×4, first 2 shown]
v_mov_b32 v133, v90                                // glvw 6 mb 10 tt1 1 r 0
v_mov_b32 v134, v91                                // glvw 6 mb 10 tt1 1 r 0
	;; [unrolled: 1-line block ×4, first 2 shown]
ds_bpermute_b32 v135, v128, v135, offset:128       // permute edge values
ds_bpermute_b32 v136, v128, v136, offset:128       // permute edge values
s_waitcnt 0                                        // wait for swizzle operation
v_mov_b32 v88, v133                                // 
v_mov_b32 v89, v134                                // 
	;; [unrolled: 1-line block ×4, first 2 shown]
s_mov_b64 s[32:33], 0xFFFFFFFFFFFFFFFF             // to restore all threads active
s_or_saveexec_b64 vcc, s[32:33]                    // all threads active
s_branch label_0302                                // done shifting


/******************************************/
/* shift d1 r=6 mb=11 vw0                 */
/******************************************/
label_0260: // r6 mb11 vw0 
s_mov_b32 s32, 11                                  // 
_v_cmpx_eq_u32 s[32:33], v132, s32                 // is thread in edge glvw region
v_and_b32 v128, 63, v[vgprSerial]                  // permute register between threads
v_lshlrev_b32 v128, 2, v128                        // permute register between threads
v_mov_b32 v133, v78                                // glvw 6 mb 11 tt1 0 r 0
v_mov_b32 v134, v79                                // glvw 6 mb 11 tt1 0 r 0
	;; [unrolled: 1-line block ×4, first 2 shown]
ds_bpermute_b32 v135, v128, v135, offset:128       // permute edge values
ds_bpermute_b32 v136, v128, v136, offset:128       // permute edge values
s_waitcnt 0                                        // wait for swizzle operation
v_mov_b32 v76, v133                                // 
v_mov_b32 v77, v134                                // 
	;; [unrolled: 1-line block ×4, first 2 shown]
v_mov_b32 v133, v94                                // glvw 6 mb 11 tt1 1 r 0
v_mov_b32 v134, v95                                // glvw 6 mb 11 tt1 1 r 0
	;; [unrolled: 1-line block ×4, first 2 shown]
ds_bpermute_b32 v135, v128, v135, offset:128       // permute edge values
ds_bpermute_b32 v136, v128, v136, offset:128       // permute edge values
s_waitcnt 0                                        // wait for swizzle operation
v_mov_b32 v92, v133                                // 
v_mov_b32 v93, v134                                // 
	;; [unrolled: 1-line block ×4, first 2 shown]
s_mov_b64 s[32:33], 0xFFFFFFFFFFFFFFFF             // to restore all threads active
s_or_saveexec_b64 vcc, s[32:33]                    // all threads active
s_branch label_0302                                // done shifting


/******************************************/
/* shift d1 r=6 mb=12 vw0                 */
/******************************************/
label_0262: // r6 mb12 vw0 
s_mov_b32 s32, 12                                  // 
_v_cmpx_eq_u32 s[32:33], v132, s32                 // is thread in edge glvw region
v_and_b32 v128, 63, v[vgprSerial]                  // permute register between threads
v_lshlrev_b32 v128, 2, v128                        // permute register between threads
v_mov_b32 v133, v98                                // glvw 6 mb 12 tt1 0 r 0
v_mov_b32 v134, v99                                // glvw 6 mb 12 tt1 0 r 0
	;; [unrolled: 1-line block ×4, first 2 shown]
ds_bpermute_b32 v135, v128, v135, offset:128       // permute edge values
ds_bpermute_b32 v136, v128, v136, offset:128       // permute edge values
s_waitcnt 0                                        // wait for swizzle operation
v_mov_b32 v96, v133                                // 
v_mov_b32 v97, v134                                // 
	;; [unrolled: 1-line block ×4, first 2 shown]
v_mov_b32 v133, v114                               // glvw 6 mb 12 tt1 1 r 0
v_mov_b32 v134, v115                               // glvw 6 mb 12 tt1 1 r 0
	;; [unrolled: 1-line block ×4, first 2 shown]
ds_bpermute_b32 v135, v128, v135, offset:128       // permute edge values
ds_bpermute_b32 v136, v128, v136, offset:128       // permute edge values
s_waitcnt 0                                        // wait for swizzle operation
v_mov_b32 v112, v133                               // 
v_mov_b32 v113, v134                               // 
v_mov_b32 v114, v135                               // 
v_mov_b32 v115, v136                               // 
s_mov_b64 s[32:33], 0xFFFFFFFFFFFFFFFF             // to restore all threads active
s_or_saveexec_b64 vcc, s[32:33]                    // all threads active
s_branch label_0302                                // done shifting


/******************************************/
/* shift d1 r=6 mb=13 vw0                 */
/******************************************/
label_0264: // r6 mb13 vw0 
s_mov_b32 s32, 13                                  // 
_v_cmpx_eq_u32 s[32:33], v132, s32                 // is thread in edge glvw region
v_and_b32 v128, 63, v[vgprSerial]                  // permute register between threads
v_lshlrev_b32 v128, 2, v128                        // permute register between threads
v_mov_b32 v133, v102                               // glvw 6 mb 13 tt1 0 r 0
v_mov_b32 v134, v103                               // glvw 6 mb 13 tt1 0 r 0
	;; [unrolled: 1-line block ×4, first 2 shown]
ds_bpermute_b32 v135, v128, v135, offset:128       // permute edge values
ds_bpermute_b32 v136, v128, v136, offset:128       // permute edge values
s_waitcnt 0                                        // wait for swizzle operation
v_mov_b32 v100, v133                               // 
v_mov_b32 v101, v134                               // 
	;; [unrolled: 1-line block ×4, first 2 shown]
v_mov_b32 v133, v118                               // glvw 6 mb 13 tt1 1 r 0
v_mov_b32 v134, v119                               // glvw 6 mb 13 tt1 1 r 0
	;; [unrolled: 1-line block ×4, first 2 shown]
ds_bpermute_b32 v135, v128, v135, offset:128       // permute edge values
ds_bpermute_b32 v136, v128, v136, offset:128       // permute edge values
s_waitcnt 0                                        // wait for swizzle operation
v_mov_b32 v116, v133                               // 
v_mov_b32 v117, v134                               // 
	;; [unrolled: 1-line block ×4, first 2 shown]
s_mov_b64 s[32:33], 0xFFFFFFFFFFFFFFFF             // to restore all threads active
s_or_saveexec_b64 vcc, s[32:33]                    // all threads active
s_branch label_0302                                // done shifting


/******************************************/
/* shift d1 r=6 mb=14 vw0                 */
/******************************************/
label_0266: // r6 mb14 vw0 
s_mov_b32 s32, 14                                  // 
_v_cmpx_eq_u32 s[32:33], v132, s32                 // is thread in edge glvw region
v_and_b32 v128, 63, v[vgprSerial]                  // permute register between threads
v_lshlrev_b32 v128, 2, v128                        // permute register between threads
v_mov_b32 v133, v106                               // glvw 6 mb 14 tt1 0 r 0
v_mov_b32 v134, v107                               // glvw 6 mb 14 tt1 0 r 0
	;; [unrolled: 1-line block ×4, first 2 shown]
ds_bpermute_b32 v135, v128, v135, offset:128       // permute edge values
ds_bpermute_b32 v136, v128, v136, offset:128       // permute edge values
s_waitcnt 0                                        // wait for swizzle operation
v_mov_b32 v104, v133                               // 
v_mov_b32 v105, v134                               // 
	;; [unrolled: 1-line block ×4, first 2 shown]
v_mov_b32 v133, v122                               // glvw 6 mb 14 tt1 1 r 0
v_mov_b32 v134, v123                               // glvw 6 mb 14 tt1 1 r 0
	;; [unrolled: 1-line block ×4, first 2 shown]
ds_bpermute_b32 v135, v128, v135, offset:128       // permute edge values
ds_bpermute_b32 v136, v128, v136, offset:128       // permute edge values
s_waitcnt 0                                        // wait for swizzle operation
v_mov_b32 v120, v133                               // 
v_mov_b32 v121, v134                               // 
	;; [unrolled: 1-line block ×4, first 2 shown]
s_mov_b64 s[32:33], 0xFFFFFFFFFFFFFFFF             // to restore all threads active
s_or_saveexec_b64 vcc, s[32:33]                    // all threads active
s_branch label_0302                                // done shifting


/******************************************/
/* shift d1 r=6 mb=15 vw0                 */
/******************************************/
label_0268: // r6 mb15 vw0 
s_mov_b32 s32, 15                                  // 
_v_cmpx_eq_u32 s[32:33], v132, s32                 // is thread in edge glvw region
v_and_b32 v128, 63, v[vgprSerial]                  // permute register between threads
v_lshlrev_b32 v128, 2, v128                        // permute register between threads
v_mov_b32 v133, v110                               // glvw 6 mb 15 tt1 0 r 0
v_mov_b32 v134, v111                               // glvw 6 mb 15 tt1 0 r 0
	;; [unrolled: 1-line block ×4, first 2 shown]
ds_bpermute_b32 v135, v128, v135, offset:128       // permute edge values
ds_bpermute_b32 v136, v128, v136, offset:128       // permute edge values
s_waitcnt 0                                        // wait for swizzle operation
v_mov_b32 v108, v133                               // 
v_mov_b32 v109, v134                               // 
	;; [unrolled: 1-line block ×4, first 2 shown]
v_mov_b32 v133, v126                               // glvw 6 mb 15 tt1 1 r 0
v_mov_b32 v134, v127                               // glvw 6 mb 15 tt1 1 r 0
	;; [unrolled: 1-line block ×4, first 2 shown]
ds_bpermute_b32 v135, v128, v135, offset:128       // permute edge values
ds_bpermute_b32 v136, v128, v136, offset:128       // permute edge values
s_waitcnt 0                                        // wait for swizzle operation
v_mov_b32 v124, v133                               // 
v_mov_b32 v125, v134                               // 
	;; [unrolled: 1-line block ×4, first 2 shown]
s_mov_b64 s[32:33], 0xFFFFFFFFFFFFFFFF             // to restore all threads active
s_or_saveexec_b64 vcc, s[32:33]                    // all threads active
s_branch label_0302                                // done shifting


/******************************************/
/* shift d1 r=7 mb=0 vw0                  */
/******************************************/
label_0271: // r7 mb0 vw0 
s_mov_b32 s32, 0                                   // 
_v_cmpx_eq_u32 s[32:33], v132, s32                 // is thread in edge glvw region
v_and_b32 v128, 63, v[vgprSerial]                  // permute register between threads
v_lshlrev_b32 v128, 2, v128                        // permute register between threads
v_mov_b32 v133, v1                                 // glvw 7 mb 0 tt1 0 r 0
v_mov_b32 v134, v2                                 // glvw 7 mb 0 tt1 0 r 0
	;; [unrolled: 1-line block ×4, first 2 shown]
ds_bpermute_b32 v136, v128, v136, offset:128       // permute edge values
s_waitcnt 0                                        // wait for swizzle operation
v_mov_b32 v0, v133                                 // 
v_mov_b32 v1, v134                                 // 
	;; [unrolled: 1-line block ×4, first 2 shown]
v_mov_b32 v133, v17                                // glvw 7 mb 0 tt1 1 r 0
v_mov_b32 v134, v18                                // glvw 7 mb 0 tt1 1 r 0
	;; [unrolled: 1-line block ×4, first 2 shown]
ds_bpermute_b32 v136, v128, v136, offset:128       // permute edge values
s_waitcnt 0                                        // wait for swizzle operation
v_mov_b32 v16, v133                                // 
v_mov_b32 v17, v134                                // 
	;; [unrolled: 1-line block ×4, first 2 shown]
s_mov_b64 s[32:33], 0xFFFFFFFFFFFFFFFF             // to restore all threads active
s_or_saveexec_b64 vcc, s[32:33]                    // all threads active
s_branch label_0302                                // done shifting


/******************************************/
/* shift d1 r=7 mb=1 vw0                  */
/******************************************/
label_0273: // r7 mb1 vw0 
s_mov_b32 s32, 1                                   // 
_v_cmpx_eq_u32 s[32:33], v132, s32                 // is thread in edge glvw region
v_and_b32 v128, 63, v[vgprSerial]                  // permute register between threads
v_lshlrev_b32 v128, 2, v128                        // permute register between threads
v_mov_b32 v133, v5                                 // glvw 7 mb 1 tt1 0 r 0
v_mov_b32 v134, v6                                 // glvw 7 mb 1 tt1 0 r 0
	;; [unrolled: 1-line block ×4, first 2 shown]
ds_bpermute_b32 v136, v128, v136, offset:128       // permute edge values
s_waitcnt 0                                        // wait for swizzle operation
v_mov_b32 v4, v133                                 // 
v_mov_b32 v5, v134                                 // 
	;; [unrolled: 1-line block ×4, first 2 shown]
v_mov_b32 v133, v21                                // glvw 7 mb 1 tt1 1 r 0
v_mov_b32 v134, v22                                // glvw 7 mb 1 tt1 1 r 0
	;; [unrolled: 1-line block ×4, first 2 shown]
ds_bpermute_b32 v136, v128, v136, offset:128       // permute edge values
s_waitcnt 0                                        // wait for swizzle operation
v_mov_b32 v20, v133                                // 
v_mov_b32 v21, v134                                // 
	;; [unrolled: 1-line block ×4, first 2 shown]
s_mov_b64 s[32:33], 0xFFFFFFFFFFFFFFFF             // to restore all threads active
s_or_saveexec_b64 vcc, s[32:33]                    // all threads active
s_branch label_0302                                // done shifting


/******************************************/
/* shift d1 r=7 mb=2 vw0                  */
/******************************************/
label_0275: // r7 mb2 vw0 
s_mov_b32 s32, 2                                   // 
_v_cmpx_eq_u32 s[32:33], v132, s32                 // is thread in edge glvw region
v_and_b32 v128, 63, v[vgprSerial]                  // permute register between threads
v_lshlrev_b32 v128, 2, v128                        // permute register between threads
v_mov_b32 v133, v9                                 // glvw 7 mb 2 tt1 0 r 0
v_mov_b32 v134, v10                                // glvw 7 mb 2 tt1 0 r 0
v_mov_b32 v135, v11                                // glvw 7 mb 2 tt1 0 r 0
v_mov_b32 v136, v8                                 // glvw 7 mb 2 tt1 0 r 0
ds_bpermute_b32 v136, v128, v136, offset:128       // permute edge values
s_waitcnt 0                                        // wait for swizzle operation
v_mov_b32 v8, v133                                 // 
v_mov_b32 v9, v134                                 // 
v_mov_b32 v10, v135                                // 
v_mov_b32 v11, v136                                // 
v_mov_b32 v133, v25                                // glvw 7 mb 2 tt1 1 r 0
v_mov_b32 v134, v26                                // glvw 7 mb 2 tt1 1 r 0
	;; [unrolled: 1-line block ×4, first 2 shown]
ds_bpermute_b32 v136, v128, v136, offset:128       // permute edge values
s_waitcnt 0                                        // wait for swizzle operation
v_mov_b32 v24, v133                                // 
v_mov_b32 v25, v134                                // 
	;; [unrolled: 1-line block ×4, first 2 shown]
s_mov_b64 s[32:33], 0xFFFFFFFFFFFFFFFF             // to restore all threads active
s_or_saveexec_b64 vcc, s[32:33]                    // all threads active
s_branch label_0302                                // done shifting


/******************************************/
/* shift d1 r=7 mb=3 vw0                  */
/******************************************/
label_0277: // r7 mb3 vw0 
s_mov_b32 s32, 3                                   // 
_v_cmpx_eq_u32 s[32:33], v132, s32                 // is thread in edge glvw region
v_and_b32 v128, 63, v[vgprSerial]                  // permute register between threads
v_lshlrev_b32 v128, 2, v128                        // permute register between threads
v_mov_b32 v133, v13                                // glvw 7 mb 3 tt1 0 r 0
v_mov_b32 v134, v14                                // glvw 7 mb 3 tt1 0 r 0
	;; [unrolled: 1-line block ×4, first 2 shown]
ds_bpermute_b32 v136, v128, v136, offset:128       // permute edge values
s_waitcnt 0                                        // wait for swizzle operation
v_mov_b32 v12, v133                                // 
v_mov_b32 v13, v134                                // 
	;; [unrolled: 1-line block ×4, first 2 shown]
v_mov_b32 v133, v29                                // glvw 7 mb 3 tt1 1 r 0
v_mov_b32 v134, v30                                // glvw 7 mb 3 tt1 1 r 0
	;; [unrolled: 1-line block ×4, first 2 shown]
ds_bpermute_b32 v136, v128, v136, offset:128       // permute edge values
s_waitcnt 0                                        // wait for swizzle operation
v_mov_b32 v28, v133                                // 
v_mov_b32 v29, v134                                // 
	;; [unrolled: 1-line block ×4, first 2 shown]
s_mov_b64 s[32:33], 0xFFFFFFFFFFFFFFFF             // to restore all threads active
s_or_saveexec_b64 vcc, s[32:33]                    // all threads active
s_branch label_0302                                // done shifting


/******************************************/
/* shift d1 r=7 mb=4 vw0                  */
/******************************************/
label_0279: // r7 mb4 vw0 
s_mov_b32 s32, 4                                   // 
_v_cmpx_eq_u32 s[32:33], v132, s32                 // is thread in edge glvw region
v_and_b32 v128, 63, v[vgprSerial]                  // permute register between threads
v_lshlrev_b32 v128, 2, v128                        // permute register between threads
v_mov_b32 v133, v33                                // glvw 7 mb 4 tt1 0 r 0
v_mov_b32 v134, v34                                // glvw 7 mb 4 tt1 0 r 0
	;; [unrolled: 1-line block ×4, first 2 shown]
ds_bpermute_b32 v136, v128, v136, offset:128       // permute edge values
s_waitcnt 0                                        // wait for swizzle operation
v_mov_b32 v32, v133                                // 
v_mov_b32 v33, v134                                // 
v_mov_b32 v34, v135                                // 
v_mov_b32 v35, v136                                // 
v_mov_b32 v133, v49                                // glvw 7 mb 4 tt1 1 r 0
v_mov_b32 v134, v50                                // glvw 7 mb 4 tt1 1 r 0
	;; [unrolled: 1-line block ×4, first 2 shown]
ds_bpermute_b32 v136, v128, v136, offset:128       // permute edge values
s_waitcnt 0                                        // wait for swizzle operation
v_mov_b32 v48, v133                                // 
v_mov_b32 v49, v134                                // 
v_mov_b32 v50, v135                                // 
v_mov_b32 v51, v136                                // 
s_mov_b64 s[32:33], 0xFFFFFFFFFFFFFFFF             // to restore all threads active
s_or_saveexec_b64 vcc, s[32:33]                    // all threads active
s_branch label_0302                                // done shifting


/******************************************/
/* shift d1 r=7 mb=5 vw0                  */
/******************************************/
label_0281: // r7 mb5 vw0 
s_mov_b32 s32, 5                                   // 
_v_cmpx_eq_u32 s[32:33], v132, s32                 // is thread in edge glvw region
v_and_b32 v128, 63, v[vgprSerial]                  // permute register between threads
v_lshlrev_b32 v128, 2, v128                        // permute register between threads
v_mov_b32 v133, v37                                // glvw 7 mb 5 tt1 0 r 0
v_mov_b32 v134, v38                                // glvw 7 mb 5 tt1 0 r 0
	;; [unrolled: 1-line block ×4, first 2 shown]
ds_bpermute_b32 v136, v128, v136, offset:128       // permute edge values
s_waitcnt 0                                        // wait for swizzle operation
v_mov_b32 v36, v133                                // 
v_mov_b32 v37, v134                                // 
	;; [unrolled: 1-line block ×4, first 2 shown]
v_mov_b32 v133, v53                                // glvw 7 mb 5 tt1 1 r 0
v_mov_b32 v134, v54                                // glvw 7 mb 5 tt1 1 r 0
	;; [unrolled: 1-line block ×4, first 2 shown]
ds_bpermute_b32 v136, v128, v136, offset:128       // permute edge values
s_waitcnt 0                                        // wait for swizzle operation
v_mov_b32 v52, v133                                // 
v_mov_b32 v53, v134                                // 
	;; [unrolled: 1-line block ×4, first 2 shown]
s_mov_b64 s[32:33], 0xFFFFFFFFFFFFFFFF             // to restore all threads active
s_or_saveexec_b64 vcc, s[32:33]                    // all threads active
s_branch label_0302                                // done shifting


/******************************************/
/* shift d1 r=7 mb=6 vw0                  */
/******************************************/
label_0283: // r7 mb6 vw0 
s_mov_b32 s32, 6                                   // 
_v_cmpx_eq_u32 s[32:33], v132, s32                 // is thread in edge glvw region
v_and_b32 v128, 63, v[vgprSerial]                  // permute register between threads
v_lshlrev_b32 v128, 2, v128                        // permute register between threads
v_mov_b32 v133, v41                                // glvw 7 mb 6 tt1 0 r 0
v_mov_b32 v134, v42                                // glvw 7 mb 6 tt1 0 r 0
	;; [unrolled: 1-line block ×4, first 2 shown]
ds_bpermute_b32 v136, v128, v136, offset:128       // permute edge values
s_waitcnt 0                                        // wait for swizzle operation
v_mov_b32 v40, v133                                // 
v_mov_b32 v41, v134                                // 
	;; [unrolled: 1-line block ×4, first 2 shown]
v_mov_b32 v133, v57                                // glvw 7 mb 6 tt1 1 r 0
v_mov_b32 v134, v58                                // glvw 7 mb 6 tt1 1 r 0
	;; [unrolled: 1-line block ×4, first 2 shown]
ds_bpermute_b32 v136, v128, v136, offset:128       // permute edge values
s_waitcnt 0                                        // wait for swizzle operation
v_mov_b32 v56, v133                                // 
v_mov_b32 v57, v134                                // 
	;; [unrolled: 1-line block ×4, first 2 shown]
s_mov_b64 s[32:33], 0xFFFFFFFFFFFFFFFF             // to restore all threads active
s_or_saveexec_b64 vcc, s[32:33]                    // all threads active
s_branch label_0302                                // done shifting


/******************************************/
/* shift d1 r=7 mb=7 vw0                  */
/******************************************/
label_0285: // r7 mb7 vw0 
s_mov_b32 s32, 7                                   // 
_v_cmpx_eq_u32 s[32:33], v132, s32                 // is thread in edge glvw region
v_and_b32 v128, 63, v[vgprSerial]                  // permute register between threads
v_lshlrev_b32 v128, 2, v128                        // permute register between threads
v_mov_b32 v133, v45                                // glvw 7 mb 7 tt1 0 r 0
v_mov_b32 v134, v46                                // glvw 7 mb 7 tt1 0 r 0
	;; [unrolled: 1-line block ×4, first 2 shown]
ds_bpermute_b32 v136, v128, v136, offset:128       // permute edge values
s_waitcnt 0                                        // wait for swizzle operation
v_mov_b32 v44, v133                                // 
v_mov_b32 v45, v134                                // 
	;; [unrolled: 1-line block ×4, first 2 shown]
v_mov_b32 v133, v61                                // glvw 7 mb 7 tt1 1 r 0
v_mov_b32 v134, v62                                // glvw 7 mb 7 tt1 1 r 0
	;; [unrolled: 1-line block ×4, first 2 shown]
ds_bpermute_b32 v136, v128, v136, offset:128       // permute edge values
s_waitcnt 0                                        // wait for swizzle operation
v_mov_b32 v60, v133                                // 
v_mov_b32 v61, v134                                // 
v_mov_b32 v62, v135                                // 
v_mov_b32 v63, v136                                // 
s_mov_b64 s[32:33], 0xFFFFFFFFFFFFFFFF             // to restore all threads active
s_or_saveexec_b64 vcc, s[32:33]                    // all threads active
s_branch label_0302                                // done shifting


/******************************************/
/* shift d1 r=7 mb=8 vw0                  */
/******************************************/
label_0287: // r7 mb8 vw0 
s_mov_b32 s32, 8                                   // 
_v_cmpx_eq_u32 s[32:33], v132, s32                 // is thread in edge glvw region
v_and_b32 v128, 63, v[vgprSerial]                  // permute register between threads
v_lshlrev_b32 v128, 2, v128                        // permute register between threads
v_mov_b32 v133, v65                                // glvw 7 mb 8 tt1 0 r 0
v_mov_b32 v134, v66                                // glvw 7 mb 8 tt1 0 r 0
v_mov_b32 v135, v67                                // glvw 7 mb 8 tt1 0 r 0
v_mov_b32 v136, v64                                // glvw 7 mb 8 tt1 0 r 0
ds_bpermute_b32 v136, v128, v136, offset:128       // permute edge values
s_waitcnt 0                                        // wait for swizzle operation
v_mov_b32 v64, v133                                // 
v_mov_b32 v65, v134                                // 
	;; [unrolled: 1-line block ×4, first 2 shown]
v_mov_b32 v133, v81                                // glvw 7 mb 8 tt1 1 r 0
v_mov_b32 v134, v82                                // glvw 7 mb 8 tt1 1 r 0
	;; [unrolled: 1-line block ×4, first 2 shown]
ds_bpermute_b32 v136, v128, v136, offset:128       // permute edge values
s_waitcnt 0                                        // wait for swizzle operation
v_mov_b32 v80, v133                                // 
v_mov_b32 v81, v134                                // 
	;; [unrolled: 1-line block ×4, first 2 shown]
s_mov_b64 s[32:33], 0xFFFFFFFFFFFFFFFF             // to restore all threads active
s_or_saveexec_b64 vcc, s[32:33]                    // all threads active
s_branch label_0302                                // done shifting


/******************************************/
/* shift d1 r=7 mb=9 vw0                  */
/******************************************/
label_0289: // r7 mb9 vw0 
s_mov_b32 s32, 9                                   // 
_v_cmpx_eq_u32 s[32:33], v132, s32                 // is thread in edge glvw region
v_and_b32 v128, 63, v[vgprSerial]                  // permute register between threads
v_lshlrev_b32 v128, 2, v128                        // permute register between threads
v_mov_b32 v133, v69                                // glvw 7 mb 9 tt1 0 r 0
v_mov_b32 v134, v70                                // glvw 7 mb 9 tt1 0 r 0
	;; [unrolled: 1-line block ×4, first 2 shown]
ds_bpermute_b32 v136, v128, v136, offset:128       // permute edge values
s_waitcnt 0                                        // wait for swizzle operation
v_mov_b32 v68, v133                                // 
v_mov_b32 v69, v134                                // 
	;; [unrolled: 1-line block ×4, first 2 shown]
v_mov_b32 v133, v85                                // glvw 7 mb 9 tt1 1 r 0
v_mov_b32 v134, v86                                // glvw 7 mb 9 tt1 1 r 0
	;; [unrolled: 1-line block ×4, first 2 shown]
ds_bpermute_b32 v136, v128, v136, offset:128       // permute edge values
s_waitcnt 0                                        // wait for swizzle operation
v_mov_b32 v84, v133                                // 
v_mov_b32 v85, v134                                // 
	;; [unrolled: 1-line block ×4, first 2 shown]
s_mov_b64 s[32:33], 0xFFFFFFFFFFFFFFFF             // to restore all threads active
s_or_saveexec_b64 vcc, s[32:33]                    // all threads active
s_branch label_0302                                // done shifting


/******************************************/
/* shift d1 r=7 mb=10 vw0                 */
/******************************************/
label_0291: // r7 mb10 vw0 
s_mov_b32 s32, 10                                  // 
_v_cmpx_eq_u32 s[32:33], v132, s32                 // is thread in edge glvw region
v_and_b32 v128, 63, v[vgprSerial]                  // permute register between threads
v_lshlrev_b32 v128, 2, v128                        // permute register between threads
v_mov_b32 v133, v73                                // glvw 7 mb 10 tt1 0 r 0
v_mov_b32 v134, v74                                // glvw 7 mb 10 tt1 0 r 0
	;; [unrolled: 1-line block ×4, first 2 shown]
ds_bpermute_b32 v136, v128, v136, offset:128       // permute edge values
s_waitcnt 0                                        // wait for swizzle operation
v_mov_b32 v72, v133                                // 
v_mov_b32 v73, v134                                // 
	;; [unrolled: 1-line block ×4, first 2 shown]
v_mov_b32 v133, v89                                // glvw 7 mb 10 tt1 1 r 0
v_mov_b32 v134, v90                                // glvw 7 mb 10 tt1 1 r 0
	;; [unrolled: 1-line block ×4, first 2 shown]
ds_bpermute_b32 v136, v128, v136, offset:128       // permute edge values
s_waitcnt 0                                        // wait for swizzle operation
v_mov_b32 v88, v133                                // 
v_mov_b32 v89, v134                                // 
	;; [unrolled: 1-line block ×4, first 2 shown]
s_mov_b64 s[32:33], 0xFFFFFFFFFFFFFFFF             // to restore all threads active
s_or_saveexec_b64 vcc, s[32:33]                    // all threads active
s_branch label_0302                                // done shifting


/******************************************/
/* shift d1 r=7 mb=11 vw0                 */
/******************************************/
label_0293: // r7 mb11 vw0 
s_mov_b32 s32, 11                                  // 
_v_cmpx_eq_u32 s[32:33], v132, s32                 // is thread in edge glvw region
v_and_b32 v128, 63, v[vgprSerial]                  // permute register between threads
v_lshlrev_b32 v128, 2, v128                        // permute register between threads
v_mov_b32 v133, v77                                // glvw 7 mb 11 tt1 0 r 0
v_mov_b32 v134, v78                                // glvw 7 mb 11 tt1 0 r 0
	;; [unrolled: 1-line block ×4, first 2 shown]
ds_bpermute_b32 v136, v128, v136, offset:128       // permute edge values
s_waitcnt 0                                        // wait for swizzle operation
v_mov_b32 v76, v133                                // 
v_mov_b32 v77, v134                                // 
	;; [unrolled: 1-line block ×4, first 2 shown]
v_mov_b32 v133, v93                                // glvw 7 mb 11 tt1 1 r 0
v_mov_b32 v134, v94                                // glvw 7 mb 11 tt1 1 r 0
	;; [unrolled: 1-line block ×4, first 2 shown]
ds_bpermute_b32 v136, v128, v136, offset:128       // permute edge values
s_waitcnt 0                                        // wait for swizzle operation
v_mov_b32 v92, v133                                // 
v_mov_b32 v93, v134                                // 
	;; [unrolled: 1-line block ×4, first 2 shown]
s_mov_b64 s[32:33], 0xFFFFFFFFFFFFFFFF             // to restore all threads active
s_or_saveexec_b64 vcc, s[32:33]                    // all threads active
s_branch label_0302                                // done shifting


/******************************************/
/* shift d1 r=7 mb=12 vw0                 */
/******************************************/
label_0295: // r7 mb12 vw0 
s_mov_b32 s32, 12                                  // 
_v_cmpx_eq_u32 s[32:33], v132, s32                 // is thread in edge glvw region
v_and_b32 v128, 63, v[vgprSerial]                  // permute register between threads
v_lshlrev_b32 v128, 2, v128                        // permute register between threads
v_mov_b32 v133, v97                                // glvw 7 mb 12 tt1 0 r 0
v_mov_b32 v134, v98                                // glvw 7 mb 12 tt1 0 r 0
	;; [unrolled: 1-line block ×4, first 2 shown]
ds_bpermute_b32 v136, v128, v136, offset:128       // permute edge values
s_waitcnt 0                                        // wait for swizzle operation
v_mov_b32 v96, v133                                // 
v_mov_b32 v97, v134                                // 
	;; [unrolled: 1-line block ×4, first 2 shown]
v_mov_b32 v133, v113                               // glvw 7 mb 12 tt1 1 r 0
v_mov_b32 v134, v114                               // glvw 7 mb 12 tt1 1 r 0
	;; [unrolled: 1-line block ×4, first 2 shown]
ds_bpermute_b32 v136, v128, v136, offset:128       // permute edge values
s_waitcnt 0                                        // wait for swizzle operation
v_mov_b32 v112, v133                               // 
v_mov_b32 v113, v134                               // 
	;; [unrolled: 1-line block ×4, first 2 shown]
s_mov_b64 s[32:33], 0xFFFFFFFFFFFFFFFF             // to restore all threads active
s_or_saveexec_b64 vcc, s[32:33]                    // all threads active
s_branch label_0302                                // done shifting


/******************************************/
/* shift d1 r=7 mb=13 vw0                 */
/******************************************/
label_0297: // r7 mb13 vw0 
s_mov_b32 s32, 13                                  // 
_v_cmpx_eq_u32 s[32:33], v132, s32                 // is thread in edge glvw region
v_and_b32 v128, 63, v[vgprSerial]                  // permute register between threads
v_lshlrev_b32 v128, 2, v128                        // permute register between threads
v_mov_b32 v133, v101                               // glvw 7 mb 13 tt1 0 r 0
v_mov_b32 v134, v102                               // glvw 7 mb 13 tt1 0 r 0
	;; [unrolled: 1-line block ×4, first 2 shown]
ds_bpermute_b32 v136, v128, v136, offset:128       // permute edge values
s_waitcnt 0                                        // wait for swizzle operation
v_mov_b32 v100, v133                               // 
v_mov_b32 v101, v134                               // 
	;; [unrolled: 1-line block ×4, first 2 shown]
v_mov_b32 v133, v117                               // glvw 7 mb 13 tt1 1 r 0
v_mov_b32 v134, v118                               // glvw 7 mb 13 tt1 1 r 0
	;; [unrolled: 1-line block ×4, first 2 shown]
ds_bpermute_b32 v136, v128, v136, offset:128       // permute edge values
s_waitcnt 0                                        // wait for swizzle operation
v_mov_b32 v116, v133                               // 
v_mov_b32 v117, v134                               // 
	;; [unrolled: 1-line block ×4, first 2 shown]
s_mov_b64 s[32:33], 0xFFFFFFFFFFFFFFFF             // to restore all threads active
s_or_saveexec_b64 vcc, s[32:33]                    // all threads active
s_branch label_0302                                // done shifting


/******************************************/
/* shift d1 r=7 mb=14 vw0                 */
/******************************************/
label_0299: // r7 mb14 vw0 
s_mov_b32 s32, 14                                  // 
_v_cmpx_eq_u32 s[32:33], v132, s32                 // is thread in edge glvw region
v_and_b32 v128, 63, v[vgprSerial]                  // permute register between threads
v_lshlrev_b32 v128, 2, v128                        // permute register between threads
v_mov_b32 v133, v105                               // glvw 7 mb 14 tt1 0 r 0
v_mov_b32 v134, v106                               // glvw 7 mb 14 tt1 0 r 0
	;; [unrolled: 1-line block ×4, first 2 shown]
ds_bpermute_b32 v136, v128, v136, offset:128       // permute edge values
s_waitcnt 0                                        // wait for swizzle operation
v_mov_b32 v104, v133                               // 
v_mov_b32 v105, v134                               // 
	;; [unrolled: 1-line block ×4, first 2 shown]
v_mov_b32 v133, v121                               // glvw 7 mb 14 tt1 1 r 0
v_mov_b32 v134, v122                               // glvw 7 mb 14 tt1 1 r 0
	;; [unrolled: 1-line block ×4, first 2 shown]
ds_bpermute_b32 v136, v128, v136, offset:128       // permute edge values
s_waitcnt 0                                        // wait for swizzle operation
v_mov_b32 v120, v133                               // 
v_mov_b32 v121, v134                               // 
	;; [unrolled: 1-line block ×4, first 2 shown]
s_mov_b64 s[32:33], 0xFFFFFFFFFFFFFFFF             // to restore all threads active
s_or_saveexec_b64 vcc, s[32:33]                    // all threads active
s_branch label_0302                                // done shifting


/******************************************/
/* shift d1 r=7 mb=15 vw0                 */
/******************************************/
label_0301: // r7 mb15 vw0 
s_mov_b32 s32, 15                                  // 
_v_cmpx_eq_u32 s[32:33], v132, s32                 // is thread in edge glvw region
v_and_b32 v128, 63, v[vgprSerial]                  // permute register between threads
v_lshlrev_b32 v128, 2, v128                        // permute register between threads
v_mov_b32 v133, v109                               // glvw 7 mb 15 tt1 0 r 0
v_mov_b32 v134, v110                               // glvw 7 mb 15 tt1 0 r 0
	;; [unrolled: 1-line block ×4, first 2 shown]
ds_bpermute_b32 v136, v128, v136, offset:128       // permute edge values
s_waitcnt 0                                        // wait for swizzle operation
v_mov_b32 v108, v133                               // 
v_mov_b32 v109, v134                               // 
	;; [unrolled: 1-line block ×4, first 2 shown]
v_mov_b32 v133, v125                               // glvw 7 mb 15 tt1 1 r 0
v_mov_b32 v134, v126                               // glvw 7 mb 15 tt1 1 r 0
	;; [unrolled: 1-line block ×4, first 2 shown]
ds_bpermute_b32 v136, v128, v136, offset:128       // permute edge values
s_waitcnt 0                                        // wait for swizzle operation
v_mov_b32 v124, v133                               // 
v_mov_b32 v125, v134                               // 
	;; [unrolled: 1-line block ×4, first 2 shown]
s_mov_b64 s[32:33], 0xFFFFFFFFFFFFFFFF             // to restore all threads active
s_or_saveexec_b64 vcc, s[32:33]                    // all threads active
s_branch label_0302                                // done shifting

label_0302: // end shift0


	;; [unrolled: 1-line block ×3, first 2 shown]
/* not-LocalSplitU: global write indices */

/* computeStoreVgprs */
v_lshrrev_b32 v132, 6, v[vgprSerial]               // v132 = v[vgprSerial] / 64
v_and_b32 v129, 63, v[vgprSerial]                  // v129 = v[vgprSerial] % 64
v_lshrrev_b32 v129, 5, v129                        // v129 = v129 / 32
v_lshlrev_b32 v129, 0x2, v129                      // thread0 * continuous_output
v_lshrrev_b32 v133, 2, v132                        // v133 = v132 / 4
v_mul_lo_u32 v133, 0x20, v133                      // wave coordination offset 1
_v_add_lshl_u32 v129, v133, v129, 0                // coordination 1 = vwb *(wave_id1 + tid1)
v_mul_lo_u32 v130, v129, s[sgprStrideC1J]          //  offset 1
v_mul_lo_u32 v131, v129, s[sgprStrideD1J]          //  offset 1
v_and_b32 v133, 3, v132                            // v133 = v132 % 4
v_mul_lo_u32 v133, 0x20, v133                      // wave coordination offset 0
v_and_b32 v128, 31, v[vgprSerial]                  // v128 = v[vgprSerial] % 32
_v_add_lshl_u32 v128, v133, v128, 0                // coordination 0 = vwa *(wave_id0 + tid0)
s_mul_i32 s31, 256, s[sgprWorkGroup0]              // wgp0 * MT0
_v_add_u32 v128, s31, v128                         // coord 0 = (tid0/MI_m)*4 + waveG0*MIB_m + MT0*SG0
s_mul_i32 s31, 128, s[sgprWorkGroup1]              // wgp1 * MT1
_v_add_u32 v129, s31, v129                         // coord 1 = (tid0%MI_m) + waveG1*MIB_n + MT1*SG1


/* not-LocalSplitU: global write */

s_cmpk_eq_u32 s[sgprBeta], 0x0                     // Beta == 0
s_cbranch_scc0 GW_Beta_349                         // Branch if Beta is not zero

s_and_b32 s32, 255, s[sgprSizeI]                   // s32 = s[sgprSizeI] % 256
s_add_u32 s33, -0x1, s[sgprNumWorkGroups0]         // 
s_cmp_ge_u32 s[sgprWorkGroup0], s33                // wg0 >= nwg0-1 ?
s_cselect_b32 s32, s32, 0                          // set rMT0
s_cmpk_gt_u32 s32, 0x0                             // rMT0 > 0
s_cbranch_scc1 GW_B0_E1_340                        // jump if edges required
s_and_b32 s32, 127, s[sgprSizeJ]                   // s32 = s[sgprSizeJ] % 128
s_add_u32 s33, -0x1, s[sgprNumWorkGroups1]         // 
s_cmp_ge_u32 s[sgprWorkGroup1], s33                // wg1 >= nwg1-1
s_cselect_b32 s32, s32, 0                          // set rMT1
s_cmpk_gt_u32 s32, 0x0                             // rMT1 > 0
s_cbranch_scc1 GW_B0_E1_340                        // jump if edges required
GW_B0_E0_337:

/* edge=0, allocate 2 sgpr. perBatchTmpS=2 perBatchMaskS=0 perElementMaskS=0 elementsPerBatch=116 */
/* optSingleColVgpr=1 optSharedColVgpr=0 optSGPRUsage=BufferLoad_Mask optSrdIncForRow=1 */
s_sleep 1 // optimization: sync and wait
s_barrier

/******************************************/
/* Global Write Alpha Batch #0 (d1,d0,vc1,vc0) = */
/*    (0,0,0,0:vw1); (0,1,0,0:vw1); (0,0,1,0:vw1); (0,1,1,0:vw1); (0,0,2,0:vw1); (0,1,2,0:vw1); (0,0,3,0:vw1); (0,1,3,0:vw1); (1,0,0,0:vw1); (1,1,0,0:vw1); (1,0,1,0:vw1); (1,1,1,0:vw1); (1,0,2,0:vw1); (1,1,2,0:vw1); (1,0,3,0:vw1); (1,1,3,0:vw1); (2,0,0,0:vw1); (2,1,0,0:vw1); (2,0,1,0:vw1); (2,1,1,0:vw1); (2,0,2,0:vw1); (2,1,2,0:vw1); (2,0,3,0:vw1); (2,1,3,0:vw1); (3,0,0,0:vw1); (3,1,0,0:vw1); (3,0,1,0:vw1); (3,1,1,0:vw1); (3,0,2,0:vw1); (3,1,2,0:vw1); (3,0,3,0:vw1); (3,1,3,0:vw1); (4,0,0,0:vw1); (4,1,0,0:vw1); (4,0,1,0:vw1); (4,1,1,0:vw1); (4,0,2,0:vw1); (4,1,2,0:vw1); (4,0,3,0:vw1); (4,1,3,0:vw1); (5,0,0,0:vw1); (5,1,0,0:vw1); (5,0,1,0:vw1); (5,1,1,0:vw1); (5,0,2,0:vw1); (5,1,2,0:vw1); (5,0,3,0:vw1); (5,1,3,0:vw1); (6,0,0,0:vw1); (6,1,0,0:vw1); (6,0,1,0:vw1); (6,1,1,0:vw1); (6,0,2,0:vw1); (6,1,2,0:vw1); (6,0,3,0:vw1); (6,1,3,0:vw1); (7,0,0,0:vw1); (7,1,0,0:vw1); (7,0,1,0:vw1); (7,1,1,0:vw1); (7,0,2,0:vw1); (7,1,2,0:vw1); (7,0,3,0:vw1); (7,1,3,0:vw1); (8,0,0,0:vw1); (8,1,0,0:vw1); (8,0,1,0:vw1); (8,1,1,0:vw1); (8,0,2,0:vw1); (8,1,2,0:vw1); (8,0,3,0:vw1); (8,1,3,0:vw1); (9,0,0,0:vw1); (9,1,0,0:vw1); (9,0,1,0:vw1); (9,1,1,0:vw1); (9,0,2,0:vw1); (9,1,2,0:vw1); (9,0,3,0:vw1); (9,1,3,0:vw1); (10,0,0,0:vw1); (10,1,0,0:vw1); (10,0,1,0:vw1); (10,1,1,0:vw1); (10,0,2,0:vw1); (10,1,2,0:vw1); (10,0,3,0:vw1); (10,1,3,0:vw1); (11,0,0,0:vw1); (11,1,0,0:vw1); (11,0,1,0:vw1); (11,1,1,0:vw1); (11,0,2,0:vw1); (11,1,2,0:vw1); (11,0,3,0:vw1); (11,1,3,0:vw1); (12,0,0,0:vw1); (12,1,0,0:vw1); (12,0,1,0:vw1); (12,1,1,0:vw1); (12,0,2,0:vw1); (12,1,2,0:vw1); (12,0,3,0:vw1); (12,1,3,0:vw1); (13,0,0,0:vw1); (13,1,0,0:vw1); (13,0,1,0:vw1); (13,1,1,0:vw1); (13,0,2,0:vw1); (13,1,2,0:vw1); (13,0,3,0:vw1); (13,1,3,0:vw1); (14,0,0,0:vw1); (14,1,0,0:vw1); (14,0,1,0:vw1); (14,1,1,0:vw1) */
/******************************************/

/* calc coords, apply mask, and issue loads (if necessary) */
/* (d1,vc1,d0,vc0)=(0,0,0,0) */
/* (d1,vc1,d0,vc0)=(0,0,1,0) */
	;; [unrolled: 1-line block ×116, first 2 shown]
_v_add_lshl_u32 v134, v131, v128, 0x2              // optSingleColVgpr scaleToBpe: sharedAddrVgpr <- cinRowPtr + coord0, scaled by BPE. BSHERE:coord0=128, coord0Vgpr=128

/* rC *= alpha batchElements=[(0, 0, 0, 0), (0, 1, 0, 0), (0, 0, 1, 0), (0, 1, 1, 0), (0, 0, 2, 0), (0, 1, 2, 0), (0, 0, 3, 0), (0, 1, 3, 0), (1, 0, 0, 0), (1, 1, 0, 0), (1, 0, 1, 0), (1, 1, 1, 0), (1, 0, 2, 0), (1, 1, 2, 0), (1, 0, 3, 0), (1, 1, 3, 0), (2, 0, 0, 0), (2, 1, 0, 0), (2, 0, 1, 0), (2, 1, 1, 0), (2, 0, 2, 0), (2, 1, 2, 0), (2, 0, 3, 0), (2, 1, 3, 0), (3, 0, 0, 0), (3, 1, 0, 0), (3, 0, 1, 0), (3, 1, 1, 0), (3, 0, 2, 0), (3, 1, 2, 0), (3, 0, 3, 0), (3, 1, 3, 0), (4, 0, 0, 0), (4, 1, 0, 0), (4, 0, 1, 0), (4, 1, 1, 0), (4, 0, 2, 0), (4, 1, 2, 0), (4, 0, 3, 0), (4, 1, 3, 0), (5, 0, 0, 0), (5, 1, 0, 0), (5, 0, 1, 0), (5, 1, 1, 0), (5, 0, 2, 0), (5, 1, 2, 0), (5, 0, 3, 0), (5, 1, 3, 0), (6, 0, 0, 0), (6, 1, 0, 0), (6, 0, 1, 0), (6, 1, 1, 0), (6, 0, 2, 0), (6, 1, 2, 0), (6, 0, 3, 0), (6, 1, 3, 0), (7, 0, 0, 0), (7, 1, 0, 0), (7, 0, 1, 0), (7, 1, 1, 0), (7, 0, 2, 0), (7, 1, 2, 0), (7, 0, 3, 0), (7, 1, 3, 0), (8, 0, 0, 0), (8, 1, 0, 0), (8, 0, 1, 0), (8, 1, 1, 0), (8, 0, 2, 0), (8, 1, 2, 0), (8, 0, 3, 0), (8, 1, 3, 0), (9, 0, 0, 0), (9, 1, 0, 0), (9, 0, 1, 0), (9, 1, 1, 0), (9, 0, 2, 0), (9, 1, 2, 0), (9, 0, 3, 0), (9, 1, 3, 0), (10, 0, 0, 0), (10, 1, 0, 0), (10, 0, 1, 0), (10, 1, 1, 0), (10, 0, 2, 0), (10, 1, 2, 0), (10, 0, 3, 0), (10, 1, 3, 0), (11, 0, 0, 0), (11, 1, 0, 0), (11, 0, 1, 0), (11, 1, 1, 0), (11, 0, 2, 0), (11, 1, 2, 0), (11, 0, 3, 0), (11, 1, 3, 0), (12, 0, 0, 0), (12, 1, 0, 0), (12, 0, 1, 0), (12, 1, 1, 0), (12, 0, 2, 0), (12, 1, 2, 0), (12, 0, 3, 0), (12, 1, 3, 0), (13, 0, 0, 0), (13, 1, 0, 0), (13, 0, 1, 0), (13, 1, 1, 0), (13, 0, 2, 0), (13, 1, 2, 0), (13, 0, 3, 0), (13, 1, 3, 0), (14, 0, 0, 0), (14, 1, 0, 0), (14, 0, 1, 0), (14, 1, 1, 0)] */
v_mul_f32 v[vgprValuC+136], s[sgprAlpha], v[vgprValuC+0] // Multiply MI out reg with alpha
v_mul_f32 v[vgprValuC+137], s[sgprAlpha], v[vgprValuC+16] // Multiply MI out reg with alpha
	;; [unrolled: 1-line block ×116, first 2 shown]

/* apply mask, calc new C and issue writes */
_buffer_store_b32 v136, v134, s[sgprSrdD:sgprSrdD+3], 0, offen, offset:0,  glc slc // store D
_buffer_store_b32 v137, v134, s[sgprSrdD:sgprSrdD+3], 0, offen, offset:512,  glc slc // store D
s_lshl_b32  s32, s[sgprStrideD1J], 2               // incToNextRow: Scale by BPE
s_add_u32  s[sgprSrdD+0], s[sgprSrdD+0], s32       // incToNextRow: gra SRD += inc(lower)
s_addc_u32  s[sgprSrdD+1], s[sgprSrdD+1], 0        // incToNextRow: gra SRD += inc(upper)
_buffer_store_b32 v138, v134, s[sgprSrdD:sgprSrdD+3], 0, offen, offset:0,  glc slc // store D
_buffer_store_b32 v139, v134, s[sgprSrdD:sgprSrdD+3], 0, offen, offset:512,  glc slc // store D
s_lshl_b32  s32, s[sgprStrideD1J], 2               // incToNextRow: Scale by BPE
s_add_u32  s[sgprSrdD+0], s[sgprSrdD+0], s32       // incToNextRow: gra SRD += inc(lower)
s_addc_u32  s[sgprSrdD+1], s[sgprSrdD+1], 0        // incToNextRow: gra SRD += inc(upper)
_buffer_store_b32 v140, v134, s[sgprSrdD:sgprSrdD+3], 0, offen, offset:0,  glc slc // store D
_buffer_store_b32 v141, v134, s[sgprSrdD:sgprSrdD+3], 0, offen, offset:512,  glc slc // store D
s_lshl_b32  s32, s[sgprStrideD1J], 2               // incToNextRow: Scale by BPE
s_add_u32  s[sgprSrdD+0], s[sgprSrdD+0], s32       // incToNextRow: gra SRD += inc(lower)
s_addc_u32  s[sgprSrdD+1], s[sgprSrdD+1], 0        // incToNextRow: gra SRD += inc(upper)
_buffer_store_b32 v142, v134, s[sgprSrdD:sgprSrdD+3], 0, offen, offset:0,  glc slc // store D
_buffer_store_b32 v143, v134, s[sgprSrdD:sgprSrdD+3], 0, offen, offset:512,  glc slc // store D
s_mul_i32 s32, s[sgprStrideD1J], 20                // scale StrideD *= numRows(5) * bpe
s_add_u32  s[sgprSrdD+0], s[sgprSrdD+0], s32       // incToNextRow: gra SRD += inc(lower)
s_addc_u32  s[sgprSrdD+1], s[sgprSrdD+1], 0        // incToNextRow: gra SRD += inc(upper)
_buffer_store_b32 v144, v134, s[sgprSrdD:sgprSrdD+3], 0, offen, offset:0,  glc slc // store D
_buffer_store_b32 v145, v134, s[sgprSrdD:sgprSrdD+3], 0, offen, offset:512,  glc slc // store D
s_lshl_b32  s32, s[sgprStrideD1J], 2               // incToNextRow: Scale by BPE
s_add_u32  s[sgprSrdD+0], s[sgprSrdD+0], s32       // incToNextRow: gra SRD += inc(lower)
s_addc_u32  s[sgprSrdD+1], s[sgprSrdD+1], 0        // incToNextRow: gra SRD += inc(upper)
_buffer_store_b32 v146, v134, s[sgprSrdD:sgprSrdD+3], 0, offen, offset:0,  glc slc // store D
_buffer_store_b32 v147, v134, s[sgprSrdD:sgprSrdD+3], 0, offen, offset:512,  glc slc // store D
s_lshl_b32  s32, s[sgprStrideD1J], 2               // incToNextRow: Scale by BPE
s_add_u32  s[sgprSrdD+0], s[sgprSrdD+0], s32       // incToNextRow: gra SRD += inc(lower)
s_addc_u32  s[sgprSrdD+1], s[sgprSrdD+1], 0        // incToNextRow: gra SRD += inc(upper)
_buffer_store_b32 v148, v134, s[sgprSrdD:sgprSrdD+3], 0, offen, offset:0,  glc slc // store D
_buffer_store_b32 v149, v134, s[sgprSrdD:sgprSrdD+3], 0, offen, offset:512,  glc slc // store D
s_lshl_b32  s32, s[sgprStrideD1J], 2               // incToNextRow: Scale by BPE
s_add_u32  s[sgprSrdD+0], s[sgprSrdD+0], s32       // incToNextRow: gra SRD += inc(lower)
s_addc_u32  s[sgprSrdD+1], s[sgprSrdD+1], 0        // incToNextRow: gra SRD += inc(upper)
_buffer_store_b32 v150, v134, s[sgprSrdD:sgprSrdD+3], 0, offen, offset:0,  glc slc // store D
_buffer_store_b32 v151, v134, s[sgprSrdD:sgprSrdD+3], 0, offen, offset:512,  glc slc // store D
s_mul_i32 s32, s[sgprStrideD1J], 20                // scale StrideD *= numRows(5) * bpe
s_add_u32  s[sgprSrdD+0], s[sgprSrdD+0], s32       // incToNextRow: gra SRD += inc(lower)
s_addc_u32  s[sgprSrdD+1], s[sgprSrdD+1], 0        // incToNextRow: gra SRD += inc(upper)
	;; [unrolled: 20-line block ×14, first 2 shown]
_buffer_store_b32 v251, v134, s[sgprSrdD:sgprSrdD+3], 0, offen, offset:0,  glc slc // store D
_buffer_store_b32 v252, v134, s[sgprSrdD:sgprSrdD+3], 0, offen, offset:512,  glc slc // store D
s_lshl_b32  s32, s[sgprStrideD1J], 2               // incToNextRow: Scale by BPE
s_add_u32  s[sgprSrdD+0], s[sgprSrdD+0], s32       // incToNextRow: gra SRD += inc(lower)
s_addc_u32  s[sgprSrdD+1], s[sgprSrdD+1], 0        // incToNextRow: gra SRD += inc(upper)
_buffer_store_b32 v253, v134, s[sgprSrdD:sgprSrdD+3], 0, offen, offset:0,  glc slc // store D
_buffer_store_b32 v254, v134, s[sgprSrdD:sgprSrdD+3], 0, offen, offset:512,  glc slc // store D
s_nop 0                                            // 1 wait state required when next inst writes vgprs held by previous dwordx4 store inst
/* optSingleColVgpr=1 optSharedColVgpr=0 optSGPRUsage=BufferLoad_Mask optSrdIncForRow=1 */
s_sleep 1 // optimization: sync and wait
s_barrier

/******************************************/
/* Global Write Alpha Batch #1 (d1,d0,vc1,vc0) = */
/*    (14,0,2,0:vw1); (14,1,2,0:vw1); (14,0,3,0:vw1); (14,1,3,0:vw1); (15,0,0,0:vw1); (15,1,0,0:vw1); (15,0,1,0:vw1); (15,1,1,0:vw1); (15,0,2,0:vw1); (15,1,2,0:vw1); (15,0,3,0:vw1); (15,1,3,0:vw1) */
/******************************************/

/* calc coords, apply mask, and issue loads (if necessary) */
/* (d1,vc1,d0,vc0)=(14,2,0,0) */
/* (d1,vc1,d0,vc0)=(14,2,1,0) */
	;; [unrolled: 1-line block ×12, first 2 shown]

/* rC *= alpha batchElements=[(14, 0, 2, 0), (14, 1, 2, 0), (14, 0, 3, 0), (14, 1, 3, 0), (15, 0, 0, 0), (15, 1, 0, 0), (15, 0, 1, 0), (15, 1, 1, 0), (15, 0, 2, 0), (15, 1, 2, 0), (15, 0, 3, 0), (15, 1, 3, 0)] */
v_mul_f32 v[vgprValuC+136], s[sgprAlpha], v[vgprValuC+106] // Multiply MI out reg with alpha
v_mul_f32 v[vgprValuC+137], s[sgprAlpha], v[vgprValuC+122] // Multiply MI out reg with alpha
v_mul_f32 v[vgprValuC+138], s[sgprAlpha], v[vgprValuC+107] // Multiply MI out reg with alpha
v_mul_f32 v[vgprValuC+139], s[sgprAlpha], v[vgprValuC+123] // Multiply MI out reg with alpha
v_mul_f32 v[vgprValuC+140], s[sgprAlpha], v[vgprValuC+108] // Multiply MI out reg with alpha
v_mul_f32 v[vgprValuC+141], s[sgprAlpha], v[vgprValuC+124] // Multiply MI out reg with alpha
v_mul_f32 v[vgprValuC+142], s[sgprAlpha], v[vgprValuC+109] // Multiply MI out reg with alpha
v_mul_f32 v[vgprValuC+143], s[sgprAlpha], v[vgprValuC+125] // Multiply MI out reg with alpha
v_mul_f32 v[vgprValuC+144], s[sgprAlpha], v[vgprValuC+110] // Multiply MI out reg with alpha
v_mul_f32 v[vgprValuC+145], s[sgprAlpha], v[vgprValuC+126] // Multiply MI out reg with alpha
v_mul_f32 v[vgprValuC+146], s[sgprAlpha], v[vgprValuC+111] // Multiply MI out reg with alpha
v_mul_f32 v[vgprValuC+147], s[sgprAlpha], v[vgprValuC+127] // Multiply MI out reg with alpha

/* apply mask, calc new C and issue writes */
s_lshl_b32  s32, s[sgprStrideD1J], 2               // incToNextRow: Scale by BPE
s_add_u32  s[sgprSrdD+0], s[sgprSrdD+0], s32       // incToNextRow: gra SRD += inc(lower)
s_addc_u32  s[sgprSrdD+1], s[sgprSrdD+1], 0        // incToNextRow: gra SRD += inc(upper)
_buffer_store_b32 v136, v134, s[sgprSrdD:sgprSrdD+3], 0, offen, offset:0,  glc slc // store D
_buffer_store_b32 v137, v134, s[sgprSrdD:sgprSrdD+3], 0, offen, offset:512,  glc slc // store D
s_lshl_b32  s32, s[sgprStrideD1J], 2               // incToNextRow: Scale by BPE
s_add_u32  s[sgprSrdD+0], s[sgprSrdD+0], s32       // incToNextRow: gra SRD += inc(lower)
s_addc_u32  s[sgprSrdD+1], s[sgprSrdD+1], 0        // incToNextRow: gra SRD += inc(upper)
_buffer_store_b32 v138, v134, s[sgprSrdD:sgprSrdD+3], 0, offen, offset:0,  glc slc // store D
_buffer_store_b32 v139, v134, s[sgprSrdD:sgprSrdD+3], 0, offen, offset:512,  glc slc // store D
s_mul_i32 s32, s[sgprStrideD1J], 20                // scale StrideD *= numRows(5) * bpe
s_add_u32  s[sgprSrdD+0], s[sgprSrdD+0], s32       // incToNextRow: gra SRD += inc(lower)
s_addc_u32  s[sgprSrdD+1], s[sgprSrdD+1], 0        // incToNextRow: gra SRD += inc(upper)
_buffer_store_b32 v140, v134, s[sgprSrdD:sgprSrdD+3], 0, offen, offset:0,  glc slc // store D
_buffer_store_b32 v141, v134, s[sgprSrdD:sgprSrdD+3], 0, offen, offset:512,  glc slc // store D
s_lshl_b32  s32, s[sgprStrideD1J], 2               // incToNextRow: Scale by BPE
s_add_u32  s[sgprSrdD+0], s[sgprSrdD+0], s32       // incToNextRow: gra SRD += inc(lower)
s_addc_u32  s[sgprSrdD+1], s[sgprSrdD+1], 0        // incToNextRow: gra SRD += inc(upper)
_buffer_store_b32 v142, v134, s[sgprSrdD:sgprSrdD+3], 0, offen, offset:0,  glc slc // store D
_buffer_store_b32 v143, v134, s[sgprSrdD:sgprSrdD+3], 0, offen, offset:512,  glc slc // store D
s_lshl_b32  s32, s[sgprStrideD1J], 2               // incToNextRow: Scale by BPE
	;; [unrolled: 5-line block ×3, first 2 shown]
s_add_u32  s[sgprSrdD+0], s[sgprSrdD+0], s32       // incToNextRow: gra SRD += inc(lower)
s_addc_u32  s[sgprSrdD+1], s[sgprSrdD+1], 0        // incToNextRow: gra SRD += inc(upper)
_buffer_store_b32 v146, v134, s[sgprSrdD:sgprSrdD+3], 0, offen, offset:0,  glc slc // store D
_buffer_store_b32 v147, v134, s[sgprSrdD:sgprSrdD+3], 0, offen, offset:512,  glc slc // store D
s_nop 0                                            // 1 wait state required when next inst writes vgprs held by previous dwordx4 store inst
s_branch label_GW_End_348                          // jump to end
GW_B0_E1_340:

/* edge=1, allocate 6 sgpr. perBatchTmpS=4 perBatchMaskS=2 perElementMaskS=0 elementsPerBatch=58 */
/* optSingleColVgpr=0 optSharedColVgpr=0 optSGPRUsage=BufferLoad_Edge_Mask optSrdIncForRow=0 */
s_sleep 1 // optimization: sync and wait
s_barrier

/******************************************/
/* Global Write Alpha Edge Batch #0 (d1,d0,vc1,vc0) = */
/*    (0,0,0,0:vw1); (0,1,0,0:vw1); (0,0,1,0:vw1); (0,1,1,0:vw1); (0,0,2,0:vw1); (0,1,2,0:vw1); (0,0,3,0:vw1); (0,1,3,0:vw1); (1,0,0,0:vw1); (1,1,0,0:vw1); (1,0,1,0:vw1); (1,1,1,0:vw1); (1,0,2,0:vw1); (1,1,2,0:vw1); (1,0,3,0:vw1); (1,1,3,0:vw1); (2,0,0,0:vw1); (2,1,0,0:vw1); (2,0,1,0:vw1); (2,1,1,0:vw1); (2,0,2,0:vw1); (2,1,2,0:vw1); (2,0,3,0:vw1); (2,1,3,0:vw1); (3,0,0,0:vw1); (3,1,0,0:vw1); (3,0,1,0:vw1); (3,1,1,0:vw1); (3,0,2,0:vw1); (3,1,2,0:vw1); (3,0,3,0:vw1); (3,1,3,0:vw1); (4,0,0,0:vw1); (4,1,0,0:vw1); (4,0,1,0:vw1); (4,1,1,0:vw1); (4,0,2,0:vw1); (4,1,2,0:vw1); (4,0,3,0:vw1); (4,1,3,0:vw1); (5,0,0,0:vw1); (5,1,0,0:vw1); (5,0,1,0:vw1); (5,1,1,0:vw1); (5,0,2,0:vw1); (5,1,2,0:vw1); (5,0,3,0:vw1); (5,1,3,0:vw1); (6,0,0,0:vw1); (6,1,0,0:vw1); (6,0,1,0:vw1); (6,1,1,0:vw1); (6,0,2,0:vw1); (6,1,2,0:vw1); (6,0,3,0:vw1); (6,1,3,0:vw1); (7,0,0,0:vw1); (7,1,0,0:vw1) */
/******************************************/

/* calc coords, apply mask, and issue loads (if necessary) */
/* (d1,vc1,d0,vc0)=(0,0,0,0) */
v_cmp_lt_u32 s[52:53], v128, s[sgprSizeI]          // coord0 < size0
v_cmp_lt_u32 s[56:57], v129, s[sgprSizeJ]          // coord1 < size1
s_and_b64 s[56:57], s[52:53], s[56:57]             // in0 && in1
_v_add_lshl_u32 v134, v131, v128, 0x2              // scaleToBpe: accumulate d0 lower and *= bpe into Cin addr
v_cndmask_b32 v134, -1, v134, s[56:57]             // LDD clip if OOB. offset
/* (d1,vc1,d0,vc0)=(0,0,1,0) */
s_mov_b32 s52, 128                                 // coordOffset0 d0=1 vc0=0
_v_add_co_u32 v132, vcc, v128, s52                 // coord0.2: coord0 += d0*sg0*VW + vc0
v_cmp_lt_u32 s[52:53], v132, s[sgprSizeI]          // coord0 < size0
v_cmp_lt_u32 s[56:57], v129, s[sgprSizeJ]          // coord1 < size1
s_and_b64 s[56:57], s[52:53], s[56:57]             // in0 && in1
_v_add_lshl_u32 v136, v131, v132, 0x2              // scaleToBpe: accumulate d0 lower and *= bpe into Cin addr
v_cndmask_b32 v136, -1, v136, s[56:57]             // LDD clip if OOB. offset
/* (d1,vc1,d0,vc0)=(0,1,0,0) */
_v_add_co_u32 v129, vcc, v129, 1                   // coord1.1: coord1Vgpr += d1*sg1*VW + vc1

/* Fix for UseInitialStridesCD, emitAddressSetupCode */
_v_add_u32 v130, v130, s[sgprStrideC1J]            // ROWINC- Move cinRowPtr to next row
_v_add_u32 v131, v131, s[sgprStrideD1J]            // Move coutRowPtr to next row
v_cmp_lt_u32 s[52:53], v128, s[sgprSizeI]          // coord0 < size0
v_cmp_lt_u32 s[56:57], v129, s[sgprSizeJ]          // coord1 < size1
s_and_b64 s[56:57], s[52:53], s[56:57]             // in0 && in1
_v_add_lshl_u32 v138, v131, v128, 0x2              // scaleToBpe: accumulate d0 lower and *= bpe into Cin addr
v_cndmask_b32 v138, -1, v138, s[56:57]             // LDD clip if OOB. offset
/* (d1,vc1,d0,vc0)=(0,1,1,0) */
s_mov_b32 s52, 128                                 // coordOffset0 d0=1 vc0=0
_v_add_co_u32 v132, vcc, v128, s52                 // coord0.2: coord0 += d0*sg0*VW + vc0
v_cmp_lt_u32 s[52:53], v132, s[sgprSizeI]          // coord0 < size0
v_cmp_lt_u32 s[56:57], v129, s[sgprSizeJ]          // coord1 < size1
s_and_b64 s[56:57], s[52:53], s[56:57]             // in0 && in1
_v_add_lshl_u32 v140, v131, v132, 0x2              // scaleToBpe: accumulate d0 lower and *= bpe into Cin addr
v_cndmask_b32 v140, -1, v140, s[56:57]             // LDD clip if OOB. offset
/* (d1,vc1,d0,vc0)=(0,2,0,0) */
_v_add_co_u32 v129, vcc, v129, 1                   // coord1.1: coord1Vgpr += d1*sg1*VW + vc1

/* Fix for UseInitialStridesCD, emitAddressSetupCode */
_v_add_u32 v130, v130, s[sgprStrideC1J]            // ROWINC- Move cinRowPtr to next row
_v_add_u32 v131, v131, s[sgprStrideD1J]            // Move coutRowPtr to next row
	;; [unrolled: 19-line block ×3, first 2 shown]
v_cmp_lt_u32 s[52:53], v128, s[sgprSizeI]          // coord0 < size0
v_cmp_lt_u32 s[56:57], v129, s[sgprSizeJ]          // coord1 < size1
s_and_b64 s[56:57], s[52:53], s[56:57]             // in0 && in1
_v_add_lshl_u32 v146, v131, v128, 0x2              // scaleToBpe: accumulate d0 lower and *= bpe into Cin addr
v_cndmask_b32 v146, -1, v146, s[56:57]             // LDD clip if OOB. offset
/* (d1,vc1,d0,vc0)=(0,3,1,0) */
s_mov_b32 s52, 128                                 // coordOffset0 d0=1 vc0=0
_v_add_co_u32 v132, vcc, v128, s52                 // coord0.2: coord0 += d0*sg0*VW + vc0
v_cmp_lt_u32 s[52:53], v132, s[sgprSizeI]          // coord0 < size0
v_cmp_lt_u32 s[56:57], v129, s[sgprSizeJ]          // coord1 < size1
s_and_b64 s[56:57], s[52:53], s[56:57]             // in0 && in1
_v_add_lshl_u32 v148, v131, v132, 0x2              // scaleToBpe: accumulate d0 lower and *= bpe into Cin addr
v_cndmask_b32 v148, -1, v148, s[56:57]             // LDD clip if OOB. offset
/* (d1,vc1,d0,vc0)=(1,0,0,0) */
_v_add_co_u32 v129, vcc, v129, 5                   // coord1.1: coord1Vgpr += d1*sg1*VW + vc1

/* Fix for UseInitialStridesCD, emitAddressSetupCode */
s_mul_i32 s52, s[sgprStrideC1J], 5                 // scale stride
_v_add_u32 v130, v130, s52                         // ROWINC- Move cinRowPtr to next row
s_mul_i32 s52, s[sgprStrideD1J], 5                 // scale stride
_v_add_u32 v131, v131, s52                         // Move coutRowPtr to next row
v_cmp_lt_u32 s[52:53], v128, s[sgprSizeI]          // coord0 < size0
v_cmp_lt_u32 s[56:57], v129, s[sgprSizeJ]          // coord1 < size1
s_and_b64 s[56:57], s[52:53], s[56:57]             // in0 && in1
_v_add_lshl_u32 v150, v131, v128, 0x2              // scaleToBpe: accumulate d0 lower and *= bpe into Cin addr
v_cndmask_b32 v150, -1, v150, s[56:57]             // LDD clip if OOB. offset
/* (d1,vc1,d0,vc0)=(1,0,1,0) */
s_mov_b32 s52, 128                                 // coordOffset0 d0=1 vc0=0
_v_add_co_u32 v132, vcc, v128, s52                 // coord0.2: coord0 += d0*sg0*VW + vc0
v_cmp_lt_u32 s[52:53], v132, s[sgprSizeI]          // coord0 < size0
v_cmp_lt_u32 s[56:57], v129, s[sgprSizeJ]          // coord1 < size1
s_and_b64 s[56:57], s[52:53], s[56:57]             // in0 && in1
_v_add_lshl_u32 v152, v131, v132, 0x2              // scaleToBpe: accumulate d0 lower and *= bpe into Cin addr
v_cndmask_b32 v152, -1, v152, s[56:57]             // LDD clip if OOB. offset
/* (d1,vc1,d0,vc0)=(1,1,0,0) */
_v_add_co_u32 v129, vcc, v129, 1                   // coord1.1: coord1Vgpr += d1*sg1*VW + vc1

/* Fix for UseInitialStridesCD, emitAddressSetupCode */
_v_add_u32 v130, v130, s[sgprStrideC1J]            // ROWINC- Move cinRowPtr to next row
_v_add_u32 v131, v131, s[sgprStrideD1J]            // Move coutRowPtr to next row
v_cmp_lt_u32 s[52:53], v128, s[sgprSizeI]          // coord0 < size0
v_cmp_lt_u32 s[56:57], v129, s[sgprSizeJ]          // coord1 < size1
s_and_b64 s[56:57], s[52:53], s[56:57]             // in0 && in1
_v_add_lshl_u32 v154, v131, v128, 0x2              // scaleToBpe: accumulate d0 lower and *= bpe into Cin addr
v_cndmask_b32 v154, -1, v154, s[56:57]             // LDD clip if OOB. offset
/* (d1,vc1,d0,vc0)=(1,1,1,0) */
s_mov_b32 s52, 128                                 // coordOffset0 d0=1 vc0=0
_v_add_co_u32 v132, vcc, v128, s52                 // coord0.2: coord0 += d0*sg0*VW + vc0
v_cmp_lt_u32 s[52:53], v132, s[sgprSizeI]          // coord0 < size0
v_cmp_lt_u32 s[56:57], v129, s[sgprSizeJ]          // coord1 < size1
s_and_b64 s[56:57], s[52:53], s[56:57]             // in0 && in1
_v_add_lshl_u32 v156, v131, v132, 0x2              // scaleToBpe: accumulate d0 lower and *= bpe into Cin addr
v_cndmask_b32 v156, -1, v156, s[56:57]             // LDD clip if OOB. offset
/* (d1,vc1,d0,vc0)=(1,2,0,0) */
_v_add_co_u32 v129, vcc, v129, 1                   // coord1.1: coord1Vgpr += d1*sg1*VW + vc1

/* Fix for UseInitialStridesCD, emitAddressSetupCode */
_v_add_u32 v130, v130, s[sgprStrideC1J]            // ROWINC- Move cinRowPtr to next row
_v_add_u32 v131, v131, s[sgprStrideD1J]            // Move coutRowPtr to next row
	;; [unrolled: 19-line block ×3, first 2 shown]
v_cmp_lt_u32 s[52:53], v128, s[sgprSizeI]          // coord0 < size0
v_cmp_lt_u32 s[56:57], v129, s[sgprSizeJ]          // coord1 < size1
s_and_b64 s[56:57], s[52:53], s[56:57]             // in0 && in1
_v_add_lshl_u32 v162, v131, v128, 0x2              // scaleToBpe: accumulate d0 lower and *= bpe into Cin addr
v_cndmask_b32 v162, -1, v162, s[56:57]             // LDD clip if OOB. offset
/* (d1,vc1,d0,vc0)=(1,3,1,0) */
s_mov_b32 s52, 128                                 // coordOffset0 d0=1 vc0=0
_v_add_co_u32 v132, vcc, v128, s52                 // coord0.2: coord0 += d0*sg0*VW + vc0
v_cmp_lt_u32 s[52:53], v132, s[sgprSizeI]          // coord0 < size0
v_cmp_lt_u32 s[56:57], v129, s[sgprSizeJ]          // coord1 < size1
s_and_b64 s[56:57], s[52:53], s[56:57]             // in0 && in1
_v_add_lshl_u32 v164, v131, v132, 0x2              // scaleToBpe: accumulate d0 lower and *= bpe into Cin addr
v_cndmask_b32 v164, -1, v164, s[56:57]             // LDD clip if OOB. offset
/* (d1,vc1,d0,vc0)=(2,0,0,0) */
_v_add_co_u32 v129, vcc, v129, 5                   // coord1.1: coord1Vgpr += d1*sg1*VW + vc1

/* Fix for UseInitialStridesCD, emitAddressSetupCode */
s_mul_i32 s52, s[sgprStrideC1J], 5                 // scale stride
_v_add_u32 v130, v130, s52                         // ROWINC- Move cinRowPtr to next row
s_mul_i32 s52, s[sgprStrideD1J], 5                 // scale stride
_v_add_u32 v131, v131, s52                         // Move coutRowPtr to next row
v_cmp_lt_u32 s[52:53], v128, s[sgprSizeI]          // coord0 < size0
v_cmp_lt_u32 s[56:57], v129, s[sgprSizeJ]          // coord1 < size1
s_and_b64 s[56:57], s[52:53], s[56:57]             // in0 && in1
_v_add_lshl_u32 v166, v131, v128, 0x2              // scaleToBpe: accumulate d0 lower and *= bpe into Cin addr
v_cndmask_b32 v166, -1, v166, s[56:57]             // LDD clip if OOB. offset
/* (d1,vc1,d0,vc0)=(2,0,1,0) */
s_mov_b32 s52, 128                                 // coordOffset0 d0=1 vc0=0
_v_add_co_u32 v132, vcc, v128, s52                 // coord0.2: coord0 += d0*sg0*VW + vc0
v_cmp_lt_u32 s[52:53], v132, s[sgprSizeI]          // coord0 < size0
v_cmp_lt_u32 s[56:57], v129, s[sgprSizeJ]          // coord1 < size1
s_and_b64 s[56:57], s[52:53], s[56:57]             // in0 && in1
_v_add_lshl_u32 v168, v131, v132, 0x2              // scaleToBpe: accumulate d0 lower and *= bpe into Cin addr
v_cndmask_b32 v168, -1, v168, s[56:57]             // LDD clip if OOB. offset
/* (d1,vc1,d0,vc0)=(2,1,0,0) */
_v_add_co_u32 v129, vcc, v129, 1                   // coord1.1: coord1Vgpr += d1*sg1*VW + vc1

/* Fix for UseInitialStridesCD, emitAddressSetupCode */
_v_add_u32 v130, v130, s[sgprStrideC1J]            // ROWINC- Move cinRowPtr to next row
_v_add_u32 v131, v131, s[sgprStrideD1J]            // Move coutRowPtr to next row
v_cmp_lt_u32 s[52:53], v128, s[sgprSizeI]          // coord0 < size0
v_cmp_lt_u32 s[56:57], v129, s[sgprSizeJ]          // coord1 < size1
s_and_b64 s[56:57], s[52:53], s[56:57]             // in0 && in1
_v_add_lshl_u32 v173, v131, v128, 0x2              // scaleToBpe: accumulate d0 lower and *= bpe into Cin addr
v_cndmask_b32 v173, -1, v173, s[56:57]             // LDD clip if OOB. offset
/* (d1,vc1,d0,vc0)=(2,1,1,0) */
s_mov_b32 s52, 128                                 // coordOffset0 d0=1 vc0=0
_v_add_co_u32 v132, vcc, v128, s52                 // coord0.2: coord0 += d0*sg0*VW + vc0
v_cmp_lt_u32 s[52:53], v132, s[sgprSizeI]          // coord0 < size0
v_cmp_lt_u32 s[56:57], v129, s[sgprSizeJ]          // coord1 < size1
s_and_b64 s[56:57], s[52:53], s[56:57]             // in0 && in1
_v_add_lshl_u32 v175, v131, v132, 0x2              // scaleToBpe: accumulate d0 lower and *= bpe into Cin addr
v_cndmask_b32 v175, -1, v175, s[56:57]             // LDD clip if OOB. offset
/* (d1,vc1,d0,vc0)=(2,2,0,0) */
_v_add_co_u32 v129, vcc, v129, 1                   // coord1.1: coord1Vgpr += d1*sg1*VW + vc1

/* Fix for UseInitialStridesCD, emitAddressSetupCode */
_v_add_u32 v130, v130, s[sgprStrideC1J]            // ROWINC- Move cinRowPtr to next row
_v_add_u32 v131, v131, s[sgprStrideD1J]            // Move coutRowPtr to next row
	;; [unrolled: 19-line block ×3, first 2 shown]
v_cmp_lt_u32 s[52:53], v128, s[sgprSizeI]          // coord0 < size0
v_cmp_lt_u32 s[56:57], v129, s[sgprSizeJ]          // coord1 < size1
s_and_b64 s[56:57], s[52:53], s[56:57]             // in0 && in1
_v_add_lshl_u32 v181, v131, v128, 0x2              // scaleToBpe: accumulate d0 lower and *= bpe into Cin addr
v_cndmask_b32 v181, -1, v181, s[56:57]             // LDD clip if OOB. offset
/* (d1,vc1,d0,vc0)=(2,3,1,0) */
s_mov_b32 s52, 128                                 // coordOffset0 d0=1 vc0=0
_v_add_co_u32 v132, vcc, v128, s52                 // coord0.2: coord0 += d0*sg0*VW + vc0
v_cmp_lt_u32 s[52:53], v132, s[sgprSizeI]          // coord0 < size0
v_cmp_lt_u32 s[56:57], v129, s[sgprSizeJ]          // coord1 < size1
s_and_b64 s[56:57], s[52:53], s[56:57]             // in0 && in1
_v_add_lshl_u32 v183, v131, v132, 0x2              // scaleToBpe: accumulate d0 lower and *= bpe into Cin addr
v_cndmask_b32 v183, -1, v183, s[56:57]             // LDD clip if OOB. offset
/* (d1,vc1,d0,vc0)=(3,0,0,0) */
_v_add_co_u32 v129, vcc, v129, 5                   // coord1.1: coord1Vgpr += d1*sg1*VW + vc1

/* Fix for UseInitialStridesCD, emitAddressSetupCode */
s_mul_i32 s52, s[sgprStrideC1J], 5                 // scale stride
_v_add_u32 v130, v130, s52                         // ROWINC- Move cinRowPtr to next row
s_mul_i32 s52, s[sgprStrideD1J], 5                 // scale stride
_v_add_u32 v131, v131, s52                         // Move coutRowPtr to next row
v_cmp_lt_u32 s[52:53], v128, s[sgprSizeI]          // coord0 < size0
v_cmp_lt_u32 s[56:57], v129, s[sgprSizeJ]          // coord1 < size1
s_and_b64 s[56:57], s[52:53], s[56:57]             // in0 && in1
_v_add_lshl_u32 v185, v131, v128, 0x2              // scaleToBpe: accumulate d0 lower and *= bpe into Cin addr
v_cndmask_b32 v185, -1, v185, s[56:57]             // LDD clip if OOB. offset
/* (d1,vc1,d0,vc0)=(3,0,1,0) */
s_mov_b32 s52, 128                                 // coordOffset0 d0=1 vc0=0
_v_add_co_u32 v132, vcc, v128, s52                 // coord0.2: coord0 += d0*sg0*VW + vc0
v_cmp_lt_u32 s[52:53], v132, s[sgprSizeI]          // coord0 < size0
v_cmp_lt_u32 s[56:57], v129, s[sgprSizeJ]          // coord1 < size1
s_and_b64 s[56:57], s[52:53], s[56:57]             // in0 && in1
_v_add_lshl_u32 v187, v131, v132, 0x2              // scaleToBpe: accumulate d0 lower and *= bpe into Cin addr
v_cndmask_b32 v187, -1, v187, s[56:57]             // LDD clip if OOB. offset
/* (d1,vc1,d0,vc0)=(3,1,0,0) */
_v_add_co_u32 v129, vcc, v129, 1                   // coord1.1: coord1Vgpr += d1*sg1*VW + vc1

/* Fix for UseInitialStridesCD, emitAddressSetupCode */
_v_add_u32 v130, v130, s[sgprStrideC1J]            // ROWINC- Move cinRowPtr to next row
_v_add_u32 v131, v131, s[sgprStrideD1J]            // Move coutRowPtr to next row
v_cmp_lt_u32 s[52:53], v128, s[sgprSizeI]          // coord0 < size0
v_cmp_lt_u32 s[56:57], v129, s[sgprSizeJ]          // coord1 < size1
s_and_b64 s[56:57], s[52:53], s[56:57]             // in0 && in1
_v_add_lshl_u32 v189, v131, v128, 0x2              // scaleToBpe: accumulate d0 lower and *= bpe into Cin addr
v_cndmask_b32 v189, -1, v189, s[56:57]             // LDD clip if OOB. offset
/* (d1,vc1,d0,vc0)=(3,1,1,0) */
s_mov_b32 s52, 128                                 // coordOffset0 d0=1 vc0=0
_v_add_co_u32 v132, vcc, v128, s52                 // coord0.2: coord0 += d0*sg0*VW + vc0
v_cmp_lt_u32 s[52:53], v132, s[sgprSizeI]          // coord0 < size0
v_cmp_lt_u32 s[56:57], v129, s[sgprSizeJ]          // coord1 < size1
s_and_b64 s[56:57], s[52:53], s[56:57]             // in0 && in1
_v_add_lshl_u32 v191, v131, v132, 0x2              // scaleToBpe: accumulate d0 lower and *= bpe into Cin addr
v_cndmask_b32 v191, -1, v191, s[56:57]             // LDD clip if OOB. offset
/* (d1,vc1,d0,vc0)=(3,2,0,0) */
_v_add_co_u32 v129, vcc, v129, 1                   // coord1.1: coord1Vgpr += d1*sg1*VW + vc1

/* Fix for UseInitialStridesCD, emitAddressSetupCode */
_v_add_u32 v130, v130, s[sgprStrideC1J]            // ROWINC- Move cinRowPtr to next row
_v_add_u32 v131, v131, s[sgprStrideD1J]            // Move coutRowPtr to next row
	;; [unrolled: 19-line block ×3, first 2 shown]
v_cmp_lt_u32 s[52:53], v128, s[sgprSizeI]          // coord0 < size0
v_cmp_lt_u32 s[56:57], v129, s[sgprSizeJ]          // coord1 < size1
s_and_b64 s[56:57], s[52:53], s[56:57]             // in0 && in1
_v_add_lshl_u32 v197, v131, v128, 0x2              // scaleToBpe: accumulate d0 lower and *= bpe into Cin addr
v_cndmask_b32 v197, -1, v197, s[56:57]             // LDD clip if OOB. offset
/* (d1,vc1,d0,vc0)=(3,3,1,0) */
s_mov_b32 s52, 128                                 // coordOffset0 d0=1 vc0=0
_v_add_co_u32 v132, vcc, v128, s52                 // coord0.2: coord0 += d0*sg0*VW + vc0
v_cmp_lt_u32 s[52:53], v132, s[sgprSizeI]          // coord0 < size0
v_cmp_lt_u32 s[56:57], v129, s[sgprSizeJ]          // coord1 < size1
s_and_b64 s[56:57], s[52:53], s[56:57]             // in0 && in1
_v_add_lshl_u32 v199, v131, v132, 0x2              // scaleToBpe: accumulate d0 lower and *= bpe into Cin addr
v_cndmask_b32 v199, -1, v199, s[56:57]             // LDD clip if OOB. offset
/* (d1,vc1,d0,vc0)=(4,0,0,0) */
_v_add_co_u32 v129, vcc, v129, 5                   // coord1.1: coord1Vgpr += d1*sg1*VW + vc1

/* Fix for UseInitialStridesCD, emitAddressSetupCode */
s_mul_i32 s52, s[sgprStrideC1J], 5                 // scale stride
_v_add_u32 v130, v130, s52                         // ROWINC- Move cinRowPtr to next row
s_mul_i32 s52, s[sgprStrideD1J], 5                 // scale stride
_v_add_u32 v131, v131, s52                         // Move coutRowPtr to next row
v_cmp_lt_u32 s[52:53], v128, s[sgprSizeI]          // coord0 < size0
v_cmp_lt_u32 s[56:57], v129, s[sgprSizeJ]          // coord1 < size1
s_and_b64 s[56:57], s[52:53], s[56:57]             // in0 && in1
_v_add_lshl_u32 v201, v131, v128, 0x2              // scaleToBpe: accumulate d0 lower and *= bpe into Cin addr
v_cndmask_b32 v201, -1, v201, s[56:57]             // LDD clip if OOB. offset
/* (d1,vc1,d0,vc0)=(4,0,1,0) */
s_mov_b32 s52, 128                                 // coordOffset0 d0=1 vc0=0
_v_add_co_u32 v132, vcc, v128, s52                 // coord0.2: coord0 += d0*sg0*VW + vc0
v_cmp_lt_u32 s[52:53], v132, s[sgprSizeI]          // coord0 < size0
v_cmp_lt_u32 s[56:57], v129, s[sgprSizeJ]          // coord1 < size1
s_and_b64 s[56:57], s[52:53], s[56:57]             // in0 && in1
_v_add_lshl_u32 v203, v131, v132, 0x2              // scaleToBpe: accumulate d0 lower and *= bpe into Cin addr
v_cndmask_b32 v203, -1, v203, s[56:57]             // LDD clip if OOB. offset
/* (d1,vc1,d0,vc0)=(4,1,0,0) */
_v_add_co_u32 v129, vcc, v129, 1                   // coord1.1: coord1Vgpr += d1*sg1*VW + vc1

/* Fix for UseInitialStridesCD, emitAddressSetupCode */
_v_add_u32 v130, v130, s[sgprStrideC1J]            // ROWINC- Move cinRowPtr to next row
_v_add_u32 v131, v131, s[sgprStrideD1J]            // Move coutRowPtr to next row
v_cmp_lt_u32 s[52:53], v128, s[sgprSizeI]          // coord0 < size0
v_cmp_lt_u32 s[56:57], v129, s[sgprSizeJ]          // coord1 < size1
s_and_b64 s[56:57], s[52:53], s[56:57]             // in0 && in1
_v_add_lshl_u32 v205, v131, v128, 0x2              // scaleToBpe: accumulate d0 lower and *= bpe into Cin addr
v_cndmask_b32 v205, -1, v205, s[56:57]             // LDD clip if OOB. offset
/* (d1,vc1,d0,vc0)=(4,1,1,0) */
s_mov_b32 s52, 128                                 // coordOffset0 d0=1 vc0=0
_v_add_co_u32 v132, vcc, v128, s52                 // coord0.2: coord0 += d0*sg0*VW + vc0
v_cmp_lt_u32 s[52:53], v132, s[sgprSizeI]          // coord0 < size0
v_cmp_lt_u32 s[56:57], v129, s[sgprSizeJ]          // coord1 < size1
s_and_b64 s[56:57], s[52:53], s[56:57]             // in0 && in1
_v_add_lshl_u32 v207, v131, v132, 0x2              // scaleToBpe: accumulate d0 lower and *= bpe into Cin addr
v_cndmask_b32 v207, -1, v207, s[56:57]             // LDD clip if OOB. offset
/* (d1,vc1,d0,vc0)=(4,2,0,0) */
_v_add_co_u32 v129, vcc, v129, 1                   // coord1.1: coord1Vgpr += d1*sg1*VW + vc1

/* Fix for UseInitialStridesCD, emitAddressSetupCode */
_v_add_u32 v130, v130, s[sgprStrideC1J]            // ROWINC- Move cinRowPtr to next row
_v_add_u32 v131, v131, s[sgprStrideD1J]            // Move coutRowPtr to next row
	;; [unrolled: 19-line block ×3, first 2 shown]
v_cmp_lt_u32 s[52:53], v128, s[sgprSizeI]          // coord0 < size0
v_cmp_lt_u32 s[56:57], v129, s[sgprSizeJ]          // coord1 < size1
s_and_b64 s[56:57], s[52:53], s[56:57]             // in0 && in1
_v_add_lshl_u32 v213, v131, v128, 0x2              // scaleToBpe: accumulate d0 lower and *= bpe into Cin addr
v_cndmask_b32 v213, -1, v213, s[56:57]             // LDD clip if OOB. offset
/* (d1,vc1,d0,vc0)=(4,3,1,0) */
s_mov_b32 s52, 128                                 // coordOffset0 d0=1 vc0=0
_v_add_co_u32 v132, vcc, v128, s52                 // coord0.2: coord0 += d0*sg0*VW + vc0
v_cmp_lt_u32 s[52:53], v132, s[sgprSizeI]          // coord0 < size0
v_cmp_lt_u32 s[56:57], v129, s[sgprSizeJ]          // coord1 < size1
s_and_b64 s[56:57], s[52:53], s[56:57]             // in0 && in1
_v_add_lshl_u32 v215, v131, v132, 0x2              // scaleToBpe: accumulate d0 lower and *= bpe into Cin addr
v_cndmask_b32 v215, -1, v215, s[56:57]             // LDD clip if OOB. offset
/* (d1,vc1,d0,vc0)=(5,0,0,0) */
_v_add_co_u32 v129, vcc, v129, 5                   // coord1.1: coord1Vgpr += d1*sg1*VW + vc1

/* Fix for UseInitialStridesCD, emitAddressSetupCode */
s_mul_i32 s52, s[sgprStrideC1J], 5                 // scale stride
_v_add_u32 v130, v130, s52                         // ROWINC- Move cinRowPtr to next row
s_mul_i32 s52, s[sgprStrideD1J], 5                 // scale stride
_v_add_u32 v131, v131, s52                         // Move coutRowPtr to next row
v_cmp_lt_u32 s[52:53], v128, s[sgprSizeI]          // coord0 < size0
v_cmp_lt_u32 s[56:57], v129, s[sgprSizeJ]          // coord1 < size1
s_and_b64 s[56:57], s[52:53], s[56:57]             // in0 && in1
_v_add_lshl_u32 v217, v131, v128, 0x2              // scaleToBpe: accumulate d0 lower and *= bpe into Cin addr
v_cndmask_b32 v217, -1, v217, s[56:57]             // LDD clip if OOB. offset
/* (d1,vc1,d0,vc0)=(5,0,1,0) */
s_mov_b32 s52, 128                                 // coordOffset0 d0=1 vc0=0
_v_add_co_u32 v132, vcc, v128, s52                 // coord0.2: coord0 += d0*sg0*VW + vc0
v_cmp_lt_u32 s[52:53], v132, s[sgprSizeI]          // coord0 < size0
v_cmp_lt_u32 s[56:57], v129, s[sgprSizeJ]          // coord1 < size1
s_and_b64 s[56:57], s[52:53], s[56:57]             // in0 && in1
_v_add_lshl_u32 v219, v131, v132, 0x2              // scaleToBpe: accumulate d0 lower and *= bpe into Cin addr
v_cndmask_b32 v219, -1, v219, s[56:57]             // LDD clip if OOB. offset
/* (d1,vc1,d0,vc0)=(5,1,0,0) */
_v_add_co_u32 v129, vcc, v129, 1                   // coord1.1: coord1Vgpr += d1*sg1*VW + vc1

/* Fix for UseInitialStridesCD, emitAddressSetupCode */
_v_add_u32 v130, v130, s[sgprStrideC1J]            // ROWINC- Move cinRowPtr to next row
_v_add_u32 v131, v131, s[sgprStrideD1J]            // Move coutRowPtr to next row
v_cmp_lt_u32 s[52:53], v128, s[sgprSizeI]          // coord0 < size0
v_cmp_lt_u32 s[56:57], v129, s[sgprSizeJ]          // coord1 < size1
s_and_b64 s[56:57], s[52:53], s[56:57]             // in0 && in1
_v_add_lshl_u32 v221, v131, v128, 0x2              // scaleToBpe: accumulate d0 lower and *= bpe into Cin addr
v_cndmask_b32 v221, -1, v221, s[56:57]             // LDD clip if OOB. offset
/* (d1,vc1,d0,vc0)=(5,1,1,0) */
s_mov_b32 s52, 128                                 // coordOffset0 d0=1 vc0=0
_v_add_co_u32 v132, vcc, v128, s52                 // coord0.2: coord0 += d0*sg0*VW + vc0
v_cmp_lt_u32 s[52:53], v132, s[sgprSizeI]          // coord0 < size0
v_cmp_lt_u32 s[56:57], v129, s[sgprSizeJ]          // coord1 < size1
s_and_b64 s[56:57], s[52:53], s[56:57]             // in0 && in1
_v_add_lshl_u32 v223, v131, v132, 0x2              // scaleToBpe: accumulate d0 lower and *= bpe into Cin addr
v_cndmask_b32 v223, -1, v223, s[56:57]             // LDD clip if OOB. offset
/* (d1,vc1,d0,vc0)=(5,2,0,0) */
_v_add_co_u32 v129, vcc, v129, 1                   // coord1.1: coord1Vgpr += d1*sg1*VW + vc1

/* Fix for UseInitialStridesCD, emitAddressSetupCode */
_v_add_u32 v130, v130, s[sgprStrideC1J]            // ROWINC- Move cinRowPtr to next row
_v_add_u32 v131, v131, s[sgprStrideD1J]            // Move coutRowPtr to next row
v_cmp_lt_u32 s[52:53], v128, s[sgprSizeI]          // coord0 < size0
v_cmp_lt_u32 s[56:57], v129, s[sgprSizeJ]          // coord1 < size1
s_and_b64 s[56:57], s[52:53], s[56:57]             // in0 && in1
_v_add_lshl_u32 v225, v131, v128, 0x2              // scaleToBpe: accumulate d0 lower and *= bpe into Cin addr
v_cndmask_b32 v225, -1, v225, s[56:57]             // LDD clip if OOB. offset
/* (d1,vc1,d0,vc0)=(5,2,1,0) */
s_mov_b32 s52, 128                                 // coordOffset0 d0=1 vc0=0
_v_add_co_u32 v132, vcc, v128, s52                 // coord0.2: coord0 += d0*sg0*VW + vc0
v_cmp_lt_u32 s[52:53], v132, s[sgprSizeI]          // coord0 < size0
v_cmp_lt_u32 s[56:57], v129, s[sgprSizeJ]          // coord1 < size1
s_and_b64 s[56:57], s[52:53], s[56:57]             // in0 && in1
_v_add_lshl_u32 v227, v131, v132, 0x2              // scaleToBpe: accumulate d0 lower and *= bpe into Cin addr
v_cndmask_b32 v227, -1, v227, s[56:57]             // LDD clip if OOB. offset
/* (d1,vc1,d0,vc0)=(5,3,0,0) */
_v_add_co_u32 v129, vcc, v129, 1                   // coord1.1: coord1Vgpr += d1*sg1*VW + vc1

/* Fix for UseInitialStridesCD, emitAddressSetupCode */
_v_add_u32 v130, v130, s[sgprStrideC1J]            // ROWINC- Move cinRowPtr to next row
_v_add_u32 v131, v131, s[sgprStrideD1J]            // Move coutRowPtr to next row
v_cmp_lt_u32 s[52:53], v128, s[sgprSizeI]          // coord0 < size0
v_cmp_lt_u32 s[56:57], v129, s[sgprSizeJ]          // coord1 < size1
s_and_b64 s[56:57], s[52:53], s[56:57]             // in0 && in1
_v_add_lshl_u32 v229, v131, v128, 0x2              // scaleToBpe: accumulate d0 lower and *= bpe into Cin addr
v_cndmask_b32 v229, -1, v229, s[56:57]             // LDD clip if OOB. offset
/* (d1,vc1,d0,vc0)=(5,3,1,0) */
s_mov_b32 s52, 128                                 // coordOffset0 d0=1 vc0=0
_v_add_co_u32 v132, vcc, v128, s52                 // coord0.2: coord0 += d0*sg0*VW + vc0
v_cmp_lt_u32 s[52:53], v132, s[sgprSizeI]          // coord0 < size0
v_cmp_lt_u32 s[56:57], v129, s[sgprSizeJ]          // coord1 < size1
s_and_b64 s[56:57], s[52:53], s[56:57]             // in0 && in1
_v_add_lshl_u32 v231, v131, v132, 0x2              // scaleToBpe: accumulate d0 lower and *= bpe into Cin addr
v_cndmask_b32 v231, -1, v231, s[56:57]             // LDD clip if OOB. offset
/* (d1,vc1,d0,vc0)=(6,0,0,0) */
_v_add_co_u32 v129, vcc, v129, 5                   // coord1.1: coord1Vgpr += d1*sg1*VW + vc1

/* Fix for UseInitialStridesCD, emitAddressSetupCode */
s_mul_i32 s52, s[sgprStrideC1J], 5                 // scale stride
_v_add_u32 v130, v130, s52                         // ROWINC- Move cinRowPtr to next row
s_mul_i32 s52, s[sgprStrideD1J], 5                 // scale stride
_v_add_u32 v131, v131, s52                         // Move coutRowPtr to next row
v_cmp_lt_u32 s[52:53], v128, s[sgprSizeI]          // coord0 < size0
v_cmp_lt_u32 s[56:57], v129, s[sgprSizeJ]          // coord1 < size1
s_and_b64 s[56:57], s[52:53], s[56:57]             // in0 && in1
_v_add_lshl_u32 v233, v131, v128, 0x2              // scaleToBpe: accumulate d0 lower and *= bpe into Cin addr
v_cndmask_b32 v233, -1, v233, s[56:57]             // LDD clip if OOB. offset
/* (d1,vc1,d0,vc0)=(6,0,1,0) */
s_mov_b32 s52, 128                                 // coordOffset0 d0=1 vc0=0
_v_add_co_u32 v132, vcc, v128, s52                 // coord0.2: coord0 += d0*sg0*VW + vc0
v_cmp_lt_u32 s[52:53], v132, s[sgprSizeI]          // coord0 < size0
v_cmp_lt_u32 s[56:57], v129, s[sgprSizeJ]          // coord1 < size1
s_and_b64 s[56:57], s[52:53], s[56:57]             // in0 && in1
_v_add_lshl_u32 v235, v131, v132, 0x2              // scaleToBpe: accumulate d0 lower and *= bpe into Cin addr
v_cndmask_b32 v235, -1, v235, s[56:57]             // LDD clip if OOB. offset
/* (d1,vc1,d0,vc0)=(6,1,0,0) */
_v_add_co_u32 v129, vcc, v129, 1                   // coord1.1: coord1Vgpr += d1*sg1*VW + vc1

/* Fix for UseInitialStridesCD, emitAddressSetupCode */
_v_add_u32 v130, v130, s[sgprStrideC1J]            // ROWINC- Move cinRowPtr to next row
_v_add_u32 v131, v131, s[sgprStrideD1J]            // Move coutRowPtr to next row
v_cmp_lt_u32 s[52:53], v128, s[sgprSizeI]          // coord0 < size0
v_cmp_lt_u32 s[56:57], v129, s[sgprSizeJ]          // coord1 < size1
s_and_b64 s[56:57], s[52:53], s[56:57]             // in0 && in1
_v_add_lshl_u32 v237, v131, v128, 0x2              // scaleToBpe: accumulate d0 lower and *= bpe into Cin addr
v_cndmask_b32 v237, -1, v237, s[56:57]             // LDD clip if OOB. offset
/* (d1,vc1,d0,vc0)=(6,1,1,0) */
s_mov_b32 s52, 128                                 // coordOffset0 d0=1 vc0=0
_v_add_co_u32 v132, vcc, v128, s52                 // coord0.2: coord0 += d0*sg0*VW + vc0
v_cmp_lt_u32 s[52:53], v132, s[sgprSizeI]          // coord0 < size0
v_cmp_lt_u32 s[56:57], v129, s[sgprSizeJ]          // coord1 < size1
s_and_b64 s[56:57], s[52:53], s[56:57]             // in0 && in1
_v_add_lshl_u32 v239, v131, v132, 0x2              // scaleToBpe: accumulate d0 lower and *= bpe into Cin addr
v_cndmask_b32 v239, -1, v239, s[56:57]             // LDD clip if OOB. offset
/* (d1,vc1,d0,vc0)=(6,2,0,0) */
_v_add_co_u32 v129, vcc, v129, 1                   // coord1.1: coord1Vgpr += d1*sg1*VW + vc1

/* Fix for UseInitialStridesCD, emitAddressSetupCode */
_v_add_u32 v130, v130, s[sgprStrideC1J]            // ROWINC- Move cinRowPtr to next row
_v_add_u32 v131, v131, s[sgprStrideD1J]            // Move coutRowPtr to next row
	;; [unrolled: 19-line block ×3, first 2 shown]
v_cmp_lt_u32 s[52:53], v128, s[sgprSizeI]          // coord0 < size0
v_cmp_lt_u32 s[56:57], v129, s[sgprSizeJ]          // coord1 < size1
s_and_b64 s[56:57], s[52:53], s[56:57]             // in0 && in1
_v_add_lshl_u32 v245, v131, v128, 0x2              // scaleToBpe: accumulate d0 lower and *= bpe into Cin addr
v_cndmask_b32 v245, -1, v245, s[56:57]             // LDD clip if OOB. offset
/* (d1,vc1,d0,vc0)=(6,3,1,0) */
s_mov_b32 s52, 128                                 // coordOffset0 d0=1 vc0=0
_v_add_co_u32 v132, vcc, v128, s52                 // coord0.2: coord0 += d0*sg0*VW + vc0
v_cmp_lt_u32 s[52:53], v132, s[sgprSizeI]          // coord0 < size0
v_cmp_lt_u32 s[56:57], v129, s[sgprSizeJ]          // coord1 < size1
s_and_b64 s[56:57], s[52:53], s[56:57]             // in0 && in1
_v_add_lshl_u32 v247, v131, v132, 0x2              // scaleToBpe: accumulate d0 lower and *= bpe into Cin addr
v_cndmask_b32 v247, -1, v247, s[56:57]             // LDD clip if OOB. offset
/* (d1,vc1,d0,vc0)=(7,0,0,0) */
_v_add_co_u32 v129, vcc, v129, 5                   // coord1.1: coord1Vgpr += d1*sg1*VW + vc1

/* Fix for UseInitialStridesCD, emitAddressSetupCode */
s_mul_i32 s52, s[sgprStrideC1J], 5                 // scale stride
_v_add_u32 v130, v130, s52                         // ROWINC- Move cinRowPtr to next row
s_mul_i32 s52, s[sgprStrideD1J], 5                 // scale stride
_v_add_u32 v131, v131, s52                         // Move coutRowPtr to next row
v_cmp_lt_u32 s[52:53], v128, s[sgprSizeI]          // coord0 < size0
v_cmp_lt_u32 s[56:57], v129, s[sgprSizeJ]          // coord1 < size1
s_and_b64 s[56:57], s[52:53], s[56:57]             // in0 && in1
_v_add_lshl_u32 v249, v131, v128, 0x2              // scaleToBpe: accumulate d0 lower and *= bpe into Cin addr
v_cndmask_b32 v249, -1, v249, s[56:57]             // LDD clip if OOB. offset
/* (d1,vc1,d0,vc0)=(7,0,1,0) */
s_mov_b32 s52, 128                                 // coordOffset0 d0=1 vc0=0
_v_add_co_u32 v132, vcc, v128, s52                 // coord0.2: coord0 += d0*sg0*VW + vc0
v_cmp_lt_u32 s[52:53], v132, s[sgprSizeI]          // coord0 < size0
v_cmp_lt_u32 s[56:57], v129, s[sgprSizeJ]          // coord1 < size1
s_and_b64 s[56:57], s[52:53], s[56:57]             // in0 && in1
_v_add_lshl_u32 v251, v131, v132, 0x2              // scaleToBpe: accumulate d0 lower and *= bpe into Cin addr
v_cndmask_b32 v251, -1, v251, s[56:57]             // LDD clip if OOB. offset

/* rC *= alpha batchElements=[(0, 0, 0, 0), (0, 1, 0, 0), (0, 0, 1, 0), (0, 1, 1, 0), (0, 0, 2, 0), (0, 1, 2, 0), (0, 0, 3, 0), (0, 1, 3, 0), (1, 0, 0, 0), (1, 1, 0, 0), (1, 0, 1, 0), (1, 1, 1, 0), (1, 0, 2, 0), (1, 1, 2, 0), (1, 0, 3, 0), (1, 1, 3, 0), (2, 0, 0, 0), (2, 1, 0, 0), (2, 0, 1, 0), (2, 1, 1, 0), (2, 0, 2, 0), (2, 1, 2, 0), (2, 0, 3, 0), (2, 1, 3, 0), (3, 0, 0, 0), (3, 1, 0, 0), (3, 0, 1, 0), (3, 1, 1, 0), (3, 0, 2, 0), (3, 1, 2, 0), (3, 0, 3, 0), (3, 1, 3, 0), (4, 0, 0, 0), (4, 1, 0, 0), (4, 0, 1, 0), (4, 1, 1, 0), (4, 0, 2, 0), (4, 1, 2, 0), (4, 0, 3, 0), (4, 1, 3, 0), (5, 0, 0, 0), (5, 1, 0, 0), (5, 0, 1, 0), (5, 1, 1, 0), (5, 0, 2, 0), (5, 1, 2, 0), (5, 0, 3, 0), (5, 1, 3, 0), (6, 0, 0, 0), (6, 1, 0, 0), (6, 0, 1, 0), (6, 1, 1, 0), (6, 0, 2, 0), (6, 1, 2, 0), (6, 0, 3, 0), (6, 1, 3, 0), (7, 0, 0, 0), (7, 1, 0, 0)] */
v_mul_f32 v[vgprValuC+135], s[sgprAlpha], v[vgprValuC+0] // Multiply MI out reg with alpha
v_mul_f32 v[vgprValuC+137], s[sgprAlpha], v[vgprValuC+16] // Multiply MI out reg with alpha
	;; [unrolled: 1-line block ×58, first 2 shown]

/* apply mask, calc new C and issue writes */
_buffer_store_b32 v135, v134, s[sgprSrdD:sgprSrdD+3], 0, offen, offset:0,  glc slc // store D
_buffer_store_b32 v137, v136, s[sgprSrdD:sgprSrdD+3], 0, offen, offset:0,  glc slc // store D
	;; [unrolled: 1-line block ×58, first 2 shown]
s_nop 0                                            // 1 wait state required when next inst writes vgprs held by previous dwordx4 store inst
/* optSingleColVgpr=0 optSharedColVgpr=0 optSGPRUsage=BufferLoad_Edge_Mask optSrdIncForRow=0 */
s_sleep 1 // optimization: sync and wait
s_barrier

/******************************************/
/* Global Write Alpha Edge Batch #1 (d1,d0,vc1,vc0) = */
/*    (7,0,1,0:vw1); (7,1,1,0:vw1); (7,0,2,0:vw1); (7,1,2,0:vw1); (7,0,3,0:vw1); (7,1,3,0:vw1); (8,0,0,0:vw1); (8,1,0,0:vw1); (8,0,1,0:vw1); (8,1,1,0:vw1); (8,0,2,0:vw1); (8,1,2,0:vw1); (8,0,3,0:vw1); (8,1,3,0:vw1); (9,0,0,0:vw1); (9,1,0,0:vw1); (9,0,1,0:vw1); (9,1,1,0:vw1); (9,0,2,0:vw1); (9,1,2,0:vw1); (9,0,3,0:vw1); (9,1,3,0:vw1); (10,0,0,0:vw1); (10,1,0,0:vw1); (10,0,1,0:vw1); (10,1,1,0:vw1); (10,0,2,0:vw1); (10,1,2,0:vw1); (10,0,3,0:vw1); (10,1,3,0:vw1); (11,0,0,0:vw1); (11,1,0,0:vw1); (11,0,1,0:vw1); (11,1,1,0:vw1); (11,0,2,0:vw1); (11,1,2,0:vw1); (11,0,3,0:vw1); (11,1,3,0:vw1); (12,0,0,0:vw1); (12,1,0,0:vw1); (12,0,1,0:vw1); (12,1,1,0:vw1); (12,0,2,0:vw1); (12,1,2,0:vw1); (12,0,3,0:vw1); (12,1,3,0:vw1); (13,0,0,0:vw1); (13,1,0,0:vw1); (13,0,1,0:vw1); (13,1,1,0:vw1); (13,0,2,0:vw1); (13,1,2,0:vw1); (13,0,3,0:vw1); (13,1,3,0:vw1); (14,0,0,0:vw1); (14,1,0,0:vw1); (14,0,1,0:vw1); (14,1,1,0:vw1) */
/******************************************/

/* calc coords, apply mask, and issue loads (if necessary) */
/* (d1,vc1,d0,vc0)=(7,1,0,0) */
_v_add_co_u32 v129, vcc, v129, 1                   // coord1.1: coord1Vgpr += d1*sg1*VW + vc1

/* Fix for UseInitialStridesCD, emitAddressSetupCode */
_v_add_u32 v130, v130, s[sgprStrideC1J]            // ROWINC- Move cinRowPtr to next row
_v_add_u32 v131, v131, s[sgprStrideD1J]            // Move coutRowPtr to next row
v_cmp_lt_u32 s[52:53], v128, s[sgprSizeI]          // coord0 < size0
v_cmp_lt_u32 s[56:57], v129, s[sgprSizeJ]          // coord1 < size1
s_and_b64 s[56:57], s[52:53], s[56:57]             // in0 && in1
_v_add_lshl_u32 v134, v131, v128, 0x2              // scaleToBpe: accumulate d0 lower and *= bpe into Cin addr
v_cndmask_b32 v134, -1, v134, s[56:57]             // LDD clip if OOB. offset
/* (d1,vc1,d0,vc0)=(7,1,1,0) */
s_mov_b32 s52, 128                                 // coordOffset0 d0=1 vc0=0
_v_add_co_u32 v132, vcc, v128, s52                 // coord0.2: coord0 += d0*sg0*VW + vc0
v_cmp_lt_u32 s[52:53], v132, s[sgprSizeI]          // coord0 < size0
v_cmp_lt_u32 s[56:57], v129, s[sgprSizeJ]          // coord1 < size1
s_and_b64 s[56:57], s[52:53], s[56:57]             // in0 && in1
_v_add_lshl_u32 v136, v131, v132, 0x2              // scaleToBpe: accumulate d0 lower and *= bpe into Cin addr
v_cndmask_b32 v136, -1, v136, s[56:57]             // LDD clip if OOB. offset
/* (d1,vc1,d0,vc0)=(7,2,0,0) */
_v_add_co_u32 v129, vcc, v129, 1                   // coord1.1: coord1Vgpr += d1*sg1*VW + vc1

/* Fix for UseInitialStridesCD, emitAddressSetupCode */
_v_add_u32 v130, v130, s[sgprStrideC1J]            // ROWINC- Move cinRowPtr to next row
_v_add_u32 v131, v131, s[sgprStrideD1J]            // Move coutRowPtr to next row
v_cmp_lt_u32 s[52:53], v128, s[sgprSizeI]          // coord0 < size0
v_cmp_lt_u32 s[56:57], v129, s[sgprSizeJ]          // coord1 < size1
s_and_b64 s[56:57], s[52:53], s[56:57]             // in0 && in1
_v_add_lshl_u32 v138, v131, v128, 0x2              // scaleToBpe: accumulate d0 lower and *= bpe into Cin addr
v_cndmask_b32 v138, -1, v138, s[56:57]             // LDD clip if OOB. offset
/* (d1,vc1,d0,vc0)=(7,2,1,0) */
s_mov_b32 s52, 128                                 // coordOffset0 d0=1 vc0=0
_v_add_co_u32 v132, vcc, v128, s52                 // coord0.2: coord0 += d0*sg0*VW + vc0
v_cmp_lt_u32 s[52:53], v132, s[sgprSizeI]          // coord0 < size0
v_cmp_lt_u32 s[56:57], v129, s[sgprSizeJ]          // coord1 < size1
s_and_b64 s[56:57], s[52:53], s[56:57]             // in0 && in1
_v_add_lshl_u32 v140, v131, v132, 0x2              // scaleToBpe: accumulate d0 lower and *= bpe into Cin addr
v_cndmask_b32 v140, -1, v140, s[56:57]             // LDD clip if OOB. offset
	;; [unrolled: 19-line block ×3, first 2 shown]
/* (d1,vc1,d0,vc0)=(8,0,0,0) */
_v_add_co_u32 v129, vcc, v129, 5                   // coord1.1: coord1Vgpr += d1*sg1*VW + vc1

/* Fix for UseInitialStridesCD, emitAddressSetupCode */
s_mul_i32 s52, s[sgprStrideC1J], 5                 // scale stride
_v_add_u32 v130, v130, s52                         // ROWINC- Move cinRowPtr to next row
s_mul_i32 s52, s[sgprStrideD1J], 5                 // scale stride
_v_add_u32 v131, v131, s52                         // Move coutRowPtr to next row
v_cmp_lt_u32 s[52:53], v128, s[sgprSizeI]          // coord0 < size0
v_cmp_lt_u32 s[56:57], v129, s[sgprSizeJ]          // coord1 < size1
s_and_b64 s[56:57], s[52:53], s[56:57]             // in0 && in1
_v_add_lshl_u32 v146, v131, v128, 0x2              // scaleToBpe: accumulate d0 lower and *= bpe into Cin addr
v_cndmask_b32 v146, -1, v146, s[56:57]             // LDD clip if OOB. offset
/* (d1,vc1,d0,vc0)=(8,0,1,0) */
s_mov_b32 s52, 128                                 // coordOffset0 d0=1 vc0=0
_v_add_co_u32 v132, vcc, v128, s52                 // coord0.2: coord0 += d0*sg0*VW + vc0
v_cmp_lt_u32 s[52:53], v132, s[sgprSizeI]          // coord0 < size0
v_cmp_lt_u32 s[56:57], v129, s[sgprSizeJ]          // coord1 < size1
s_and_b64 s[56:57], s[52:53], s[56:57]             // in0 && in1
_v_add_lshl_u32 v148, v131, v132, 0x2              // scaleToBpe: accumulate d0 lower and *= bpe into Cin addr
v_cndmask_b32 v148, -1, v148, s[56:57]             // LDD clip if OOB. offset
/* (d1,vc1,d0,vc0)=(8,1,0,0) */
_v_add_co_u32 v129, vcc, v129, 1                   // coord1.1: coord1Vgpr += d1*sg1*VW + vc1

/* Fix for UseInitialStridesCD, emitAddressSetupCode */
_v_add_u32 v130, v130, s[sgprStrideC1J]            // ROWINC- Move cinRowPtr to next row
_v_add_u32 v131, v131, s[sgprStrideD1J]            // Move coutRowPtr to next row
v_cmp_lt_u32 s[52:53], v128, s[sgprSizeI]          // coord0 < size0
v_cmp_lt_u32 s[56:57], v129, s[sgprSizeJ]          // coord1 < size1
s_and_b64 s[56:57], s[52:53], s[56:57]             // in0 && in1
_v_add_lshl_u32 v150, v131, v128, 0x2              // scaleToBpe: accumulate d0 lower and *= bpe into Cin addr
v_cndmask_b32 v150, -1, v150, s[56:57]             // LDD clip if OOB. offset
/* (d1,vc1,d0,vc0)=(8,1,1,0) */
s_mov_b32 s52, 128                                 // coordOffset0 d0=1 vc0=0
_v_add_co_u32 v132, vcc, v128, s52                 // coord0.2: coord0 += d0*sg0*VW + vc0
v_cmp_lt_u32 s[52:53], v132, s[sgprSizeI]          // coord0 < size0
v_cmp_lt_u32 s[56:57], v129, s[sgprSizeJ]          // coord1 < size1
s_and_b64 s[56:57], s[52:53], s[56:57]             // in0 && in1
_v_add_lshl_u32 v152, v131, v132, 0x2              // scaleToBpe: accumulate d0 lower and *= bpe into Cin addr
v_cndmask_b32 v152, -1, v152, s[56:57]             // LDD clip if OOB. offset
/* (d1,vc1,d0,vc0)=(8,2,0,0) */
_v_add_co_u32 v129, vcc, v129, 1                   // coord1.1: coord1Vgpr += d1*sg1*VW + vc1

/* Fix for UseInitialStridesCD, emitAddressSetupCode */
_v_add_u32 v130, v130, s[sgprStrideC1J]            // ROWINC- Move cinRowPtr to next row
_v_add_u32 v131, v131, s[sgprStrideD1J]            // Move coutRowPtr to next row
v_cmp_lt_u32 s[52:53], v128, s[sgprSizeI]          // coord0 < size0
v_cmp_lt_u32 s[56:57], v129, s[sgprSizeJ]          // coord1 < size1
s_and_b64 s[56:57], s[52:53], s[56:57]             // in0 && in1
_v_add_lshl_u32 v154, v131, v128, 0x2              // scaleToBpe: accumulate d0 lower and *= bpe into Cin addr
v_cndmask_b32 v154, -1, v154, s[56:57]             // LDD clip if OOB. offset
/* (d1,vc1,d0,vc0)=(8,2,1,0) */
s_mov_b32 s52, 128                                 // coordOffset0 d0=1 vc0=0
_v_add_co_u32 v132, vcc, v128, s52                 // coord0.2: coord0 += d0*sg0*VW + vc0
v_cmp_lt_u32 s[52:53], v132, s[sgprSizeI]          // coord0 < size0
v_cmp_lt_u32 s[56:57], v129, s[sgprSizeJ]          // coord1 < size1
s_and_b64 s[56:57], s[52:53], s[56:57]             // in0 && in1
_v_add_lshl_u32 v156, v131, v132, 0x2              // scaleToBpe: accumulate d0 lower and *= bpe into Cin addr
v_cndmask_b32 v156, -1, v156, s[56:57]             // LDD clip if OOB. offset
/* (d1,vc1,d0,vc0)=(8,3,0,0) */
_v_add_co_u32 v129, vcc, v129, 1                   // coord1.1: coord1Vgpr += d1*sg1*VW + vc1

/* Fix for UseInitialStridesCD, emitAddressSetupCode */
_v_add_u32 v130, v130, s[sgprStrideC1J]            // ROWINC- Move cinRowPtr to next row
_v_add_u32 v131, v131, s[sgprStrideD1J]            // Move coutRowPtr to next row
v_cmp_lt_u32 s[52:53], v128, s[sgprSizeI]          // coord0 < size0
v_cmp_lt_u32 s[56:57], v129, s[sgprSizeJ]          // coord1 < size1
s_and_b64 s[56:57], s[52:53], s[56:57]             // in0 && in1
_v_add_lshl_u32 v158, v131, v128, 0x2              // scaleToBpe: accumulate d0 lower and *= bpe into Cin addr
v_cndmask_b32 v158, -1, v158, s[56:57]             // LDD clip if OOB. offset
/* (d1,vc1,d0,vc0)=(8,3,1,0) */
s_mov_b32 s52, 128                                 // coordOffset0 d0=1 vc0=0
_v_add_co_u32 v132, vcc, v128, s52                 // coord0.2: coord0 += d0*sg0*VW + vc0
v_cmp_lt_u32 s[52:53], v132, s[sgprSizeI]          // coord0 < size0
v_cmp_lt_u32 s[56:57], v129, s[sgprSizeJ]          // coord1 < size1
s_and_b64 s[56:57], s[52:53], s[56:57]             // in0 && in1
_v_add_lshl_u32 v160, v131, v132, 0x2              // scaleToBpe: accumulate d0 lower and *= bpe into Cin addr
v_cndmask_b32 v160, -1, v160, s[56:57]             // LDD clip if OOB. offset
/* (d1,vc1,d0,vc0)=(9,0,0,0) */
_v_add_co_u32 v129, vcc, v129, 5                   // coord1.1: coord1Vgpr += d1*sg1*VW + vc1

/* Fix for UseInitialStridesCD, emitAddressSetupCode */
s_mul_i32 s52, s[sgprStrideC1J], 5                 // scale stride
_v_add_u32 v130, v130, s52                         // ROWINC- Move cinRowPtr to next row
s_mul_i32 s52, s[sgprStrideD1J], 5                 // scale stride
_v_add_u32 v131, v131, s52                         // Move coutRowPtr to next row
v_cmp_lt_u32 s[52:53], v128, s[sgprSizeI]          // coord0 < size0
v_cmp_lt_u32 s[56:57], v129, s[sgprSizeJ]          // coord1 < size1
s_and_b64 s[56:57], s[52:53], s[56:57]             // in0 && in1
_v_add_lshl_u32 v162, v131, v128, 0x2              // scaleToBpe: accumulate d0 lower and *= bpe into Cin addr
v_cndmask_b32 v162, -1, v162, s[56:57]             // LDD clip if OOB. offset
/* (d1,vc1,d0,vc0)=(9,0,1,0) */
s_mov_b32 s52, 128                                 // coordOffset0 d0=1 vc0=0
_v_add_co_u32 v132, vcc, v128, s52                 // coord0.2: coord0 += d0*sg0*VW + vc0
v_cmp_lt_u32 s[52:53], v132, s[sgprSizeI]          // coord0 < size0
v_cmp_lt_u32 s[56:57], v129, s[sgprSizeJ]          // coord1 < size1
s_and_b64 s[56:57], s[52:53], s[56:57]             // in0 && in1
_v_add_lshl_u32 v164, v131, v132, 0x2              // scaleToBpe: accumulate d0 lower and *= bpe into Cin addr
v_cndmask_b32 v164, -1, v164, s[56:57]             // LDD clip if OOB. offset
/* (d1,vc1,d0,vc0)=(9,1,0,0) */
_v_add_co_u32 v129, vcc, v129, 1                   // coord1.1: coord1Vgpr += d1*sg1*VW + vc1

/* Fix for UseInitialStridesCD, emitAddressSetupCode */
_v_add_u32 v130, v130, s[sgprStrideC1J]            // ROWINC- Move cinRowPtr to next row
_v_add_u32 v131, v131, s[sgprStrideD1J]            // Move coutRowPtr to next row
v_cmp_lt_u32 s[52:53], v128, s[sgprSizeI]          // coord0 < size0
v_cmp_lt_u32 s[56:57], v129, s[sgprSizeJ]          // coord1 < size1
s_and_b64 s[56:57], s[52:53], s[56:57]             // in0 && in1
_v_add_lshl_u32 v166, v131, v128, 0x2              // scaleToBpe: accumulate d0 lower and *= bpe into Cin addr
v_cndmask_b32 v166, -1, v166, s[56:57]             // LDD clip if OOB. offset
/* (d1,vc1,d0,vc0)=(9,1,1,0) */
s_mov_b32 s52, 128                                 // coordOffset0 d0=1 vc0=0
_v_add_co_u32 v132, vcc, v128, s52                 // coord0.2: coord0 += d0*sg0*VW + vc0
v_cmp_lt_u32 s[52:53], v132, s[sgprSizeI]          // coord0 < size0
v_cmp_lt_u32 s[56:57], v129, s[sgprSizeJ]          // coord1 < size1
s_and_b64 s[56:57], s[52:53], s[56:57]             // in0 && in1
_v_add_lshl_u32 v168, v131, v132, 0x2              // scaleToBpe: accumulate d0 lower and *= bpe into Cin addr
v_cndmask_b32 v168, -1, v168, s[56:57]             // LDD clip if OOB. offset
/* (d1,vc1,d0,vc0)=(9,2,0,0) */
_v_add_co_u32 v129, vcc, v129, 1                   // coord1.1: coord1Vgpr += d1*sg1*VW + vc1

/* Fix for UseInitialStridesCD, emitAddressSetupCode */
_v_add_u32 v130, v130, s[sgprStrideC1J]            // ROWINC- Move cinRowPtr to next row
_v_add_u32 v131, v131, s[sgprStrideD1J]            // Move coutRowPtr to next row
	;; [unrolled: 19-line block ×3, first 2 shown]
v_cmp_lt_u32 s[52:53], v128, s[sgprSizeI]          // coord0 < size0
v_cmp_lt_u32 s[56:57], v129, s[sgprSizeJ]          // coord1 < size1
s_and_b64 s[56:57], s[52:53], s[56:57]             // in0 && in1
_v_add_lshl_u32 v177, v131, v128, 0x2              // scaleToBpe: accumulate d0 lower and *= bpe into Cin addr
v_cndmask_b32 v177, -1, v177, s[56:57]             // LDD clip if OOB. offset
/* (d1,vc1,d0,vc0)=(9,3,1,0) */
s_mov_b32 s52, 128                                 // coordOffset0 d0=1 vc0=0
_v_add_co_u32 v132, vcc, v128, s52                 // coord0.2: coord0 += d0*sg0*VW + vc0
v_cmp_lt_u32 s[52:53], v132, s[sgprSizeI]          // coord0 < size0
v_cmp_lt_u32 s[56:57], v129, s[sgprSizeJ]          // coord1 < size1
s_and_b64 s[56:57], s[52:53], s[56:57]             // in0 && in1
_v_add_lshl_u32 v179, v131, v132, 0x2              // scaleToBpe: accumulate d0 lower and *= bpe into Cin addr
v_cndmask_b32 v179, -1, v179, s[56:57]             // LDD clip if OOB. offset
/* (d1,vc1,d0,vc0)=(10,0,0,0) */
_v_add_co_u32 v129, vcc, v129, 5                   // coord1.1: coord1Vgpr += d1*sg1*VW + vc1

/* Fix for UseInitialStridesCD, emitAddressSetupCode */
s_mul_i32 s52, s[sgprStrideC1J], 5                 // scale stride
_v_add_u32 v130, v130, s52                         // ROWINC- Move cinRowPtr to next row
s_mul_i32 s52, s[sgprStrideD1J], 5                 // scale stride
_v_add_u32 v131, v131, s52                         // Move coutRowPtr to next row
v_cmp_lt_u32 s[52:53], v128, s[sgprSizeI]          // coord0 < size0
v_cmp_lt_u32 s[56:57], v129, s[sgprSizeJ]          // coord1 < size1
s_and_b64 s[56:57], s[52:53], s[56:57]             // in0 && in1
_v_add_lshl_u32 v181, v131, v128, 0x2              // scaleToBpe: accumulate d0 lower and *= bpe into Cin addr
v_cndmask_b32 v181, -1, v181, s[56:57]             // LDD clip if OOB. offset
/* (d1,vc1,d0,vc0)=(10,0,1,0) */
s_mov_b32 s52, 128                                 // coordOffset0 d0=1 vc0=0
_v_add_co_u32 v132, vcc, v128, s52                 // coord0.2: coord0 += d0*sg0*VW + vc0
v_cmp_lt_u32 s[52:53], v132, s[sgprSizeI]          // coord0 < size0
v_cmp_lt_u32 s[56:57], v129, s[sgprSizeJ]          // coord1 < size1
s_and_b64 s[56:57], s[52:53], s[56:57]             // in0 && in1
_v_add_lshl_u32 v183, v131, v132, 0x2              // scaleToBpe: accumulate d0 lower and *= bpe into Cin addr
v_cndmask_b32 v183, -1, v183, s[56:57]             // LDD clip if OOB. offset
/* (d1,vc1,d0,vc0)=(10,1,0,0) */
_v_add_co_u32 v129, vcc, v129, 1                   // coord1.1: coord1Vgpr += d1*sg1*VW + vc1

/* Fix for UseInitialStridesCD, emitAddressSetupCode */
_v_add_u32 v130, v130, s[sgprStrideC1J]            // ROWINC- Move cinRowPtr to next row
_v_add_u32 v131, v131, s[sgprStrideD1J]            // Move coutRowPtr to next row
v_cmp_lt_u32 s[52:53], v128, s[sgprSizeI]          // coord0 < size0
v_cmp_lt_u32 s[56:57], v129, s[sgprSizeJ]          // coord1 < size1
s_and_b64 s[56:57], s[52:53], s[56:57]             // in0 && in1
_v_add_lshl_u32 v185, v131, v128, 0x2              // scaleToBpe: accumulate d0 lower and *= bpe into Cin addr
v_cndmask_b32 v185, -1, v185, s[56:57]             // LDD clip if OOB. offset
/* (d1,vc1,d0,vc0)=(10,1,1,0) */
s_mov_b32 s52, 128                                 // coordOffset0 d0=1 vc0=0
_v_add_co_u32 v132, vcc, v128, s52                 // coord0.2: coord0 += d0*sg0*VW + vc0
v_cmp_lt_u32 s[52:53], v132, s[sgprSizeI]          // coord0 < size0
v_cmp_lt_u32 s[56:57], v129, s[sgprSizeJ]          // coord1 < size1
s_and_b64 s[56:57], s[52:53], s[56:57]             // in0 && in1
_v_add_lshl_u32 v187, v131, v132, 0x2              // scaleToBpe: accumulate d0 lower and *= bpe into Cin addr
v_cndmask_b32 v187, -1, v187, s[56:57]             // LDD clip if OOB. offset
/* (d1,vc1,d0,vc0)=(10,2,0,0) */
_v_add_co_u32 v129, vcc, v129, 1                   // coord1.1: coord1Vgpr += d1*sg1*VW + vc1

/* Fix for UseInitialStridesCD, emitAddressSetupCode */
_v_add_u32 v130, v130, s[sgprStrideC1J]            // ROWINC- Move cinRowPtr to next row
_v_add_u32 v131, v131, s[sgprStrideD1J]            // Move coutRowPtr to next row
	;; [unrolled: 19-line block ×3, first 2 shown]
v_cmp_lt_u32 s[52:53], v128, s[sgprSizeI]          // coord0 < size0
v_cmp_lt_u32 s[56:57], v129, s[sgprSizeJ]          // coord1 < size1
s_and_b64 s[56:57], s[52:53], s[56:57]             // in0 && in1
_v_add_lshl_u32 v193, v131, v128, 0x2              // scaleToBpe: accumulate d0 lower and *= bpe into Cin addr
v_cndmask_b32 v193, -1, v193, s[56:57]             // LDD clip if OOB. offset
/* (d1,vc1,d0,vc0)=(10,3,1,0) */
s_mov_b32 s52, 128                                 // coordOffset0 d0=1 vc0=0
_v_add_co_u32 v132, vcc, v128, s52                 // coord0.2: coord0 += d0*sg0*VW + vc0
v_cmp_lt_u32 s[52:53], v132, s[sgprSizeI]          // coord0 < size0
v_cmp_lt_u32 s[56:57], v129, s[sgprSizeJ]          // coord1 < size1
s_and_b64 s[56:57], s[52:53], s[56:57]             // in0 && in1
_v_add_lshl_u32 v195, v131, v132, 0x2              // scaleToBpe: accumulate d0 lower and *= bpe into Cin addr
v_cndmask_b32 v195, -1, v195, s[56:57]             // LDD clip if OOB. offset
/* (d1,vc1,d0,vc0)=(11,0,0,0) */
_v_add_co_u32 v129, vcc, v129, 5                   // coord1.1: coord1Vgpr += d1*sg1*VW + vc1

/* Fix for UseInitialStridesCD, emitAddressSetupCode */
s_mul_i32 s52, s[sgprStrideC1J], 5                 // scale stride
_v_add_u32 v130, v130, s52                         // ROWINC- Move cinRowPtr to next row
s_mul_i32 s52, s[sgprStrideD1J], 5                 // scale stride
_v_add_u32 v131, v131, s52                         // Move coutRowPtr to next row
v_cmp_lt_u32 s[52:53], v128, s[sgprSizeI]          // coord0 < size0
v_cmp_lt_u32 s[56:57], v129, s[sgprSizeJ]          // coord1 < size1
s_and_b64 s[56:57], s[52:53], s[56:57]             // in0 && in1
_v_add_lshl_u32 v197, v131, v128, 0x2              // scaleToBpe: accumulate d0 lower and *= bpe into Cin addr
v_cndmask_b32 v197, -1, v197, s[56:57]             // LDD clip if OOB. offset
/* (d1,vc1,d0,vc0)=(11,0,1,0) */
s_mov_b32 s52, 128                                 // coordOffset0 d0=1 vc0=0
_v_add_co_u32 v132, vcc, v128, s52                 // coord0.2: coord0 += d0*sg0*VW + vc0
v_cmp_lt_u32 s[52:53], v132, s[sgprSizeI]          // coord0 < size0
v_cmp_lt_u32 s[56:57], v129, s[sgprSizeJ]          // coord1 < size1
s_and_b64 s[56:57], s[52:53], s[56:57]             // in0 && in1
_v_add_lshl_u32 v199, v131, v132, 0x2              // scaleToBpe: accumulate d0 lower and *= bpe into Cin addr
v_cndmask_b32 v199, -1, v199, s[56:57]             // LDD clip if OOB. offset
/* (d1,vc1,d0,vc0)=(11,1,0,0) */
_v_add_co_u32 v129, vcc, v129, 1                   // coord1.1: coord1Vgpr += d1*sg1*VW + vc1

/* Fix for UseInitialStridesCD, emitAddressSetupCode */
_v_add_u32 v130, v130, s[sgprStrideC1J]            // ROWINC- Move cinRowPtr to next row
_v_add_u32 v131, v131, s[sgprStrideD1J]            // Move coutRowPtr to next row
v_cmp_lt_u32 s[52:53], v128, s[sgprSizeI]          // coord0 < size0
v_cmp_lt_u32 s[56:57], v129, s[sgprSizeJ]          // coord1 < size1
s_and_b64 s[56:57], s[52:53], s[56:57]             // in0 && in1
_v_add_lshl_u32 v201, v131, v128, 0x2              // scaleToBpe: accumulate d0 lower and *= bpe into Cin addr
v_cndmask_b32 v201, -1, v201, s[56:57]             // LDD clip if OOB. offset
/* (d1,vc1,d0,vc0)=(11,1,1,0) */
s_mov_b32 s52, 128                                 // coordOffset0 d0=1 vc0=0
_v_add_co_u32 v132, vcc, v128, s52                 // coord0.2: coord0 += d0*sg0*VW + vc0
v_cmp_lt_u32 s[52:53], v132, s[sgprSizeI]          // coord0 < size0
v_cmp_lt_u32 s[56:57], v129, s[sgprSizeJ]          // coord1 < size1
s_and_b64 s[56:57], s[52:53], s[56:57]             // in0 && in1
_v_add_lshl_u32 v203, v131, v132, 0x2              // scaleToBpe: accumulate d0 lower and *= bpe into Cin addr
v_cndmask_b32 v203, -1, v203, s[56:57]             // LDD clip if OOB. offset
/* (d1,vc1,d0,vc0)=(11,2,0,0) */
_v_add_co_u32 v129, vcc, v129, 1                   // coord1.1: coord1Vgpr += d1*sg1*VW + vc1

/* Fix for UseInitialStridesCD, emitAddressSetupCode */
_v_add_u32 v130, v130, s[sgprStrideC1J]            // ROWINC- Move cinRowPtr to next row
_v_add_u32 v131, v131, s[sgprStrideD1J]            // Move coutRowPtr to next row
	;; [unrolled: 19-line block ×3, first 2 shown]
v_cmp_lt_u32 s[52:53], v128, s[sgprSizeI]          // coord0 < size0
v_cmp_lt_u32 s[56:57], v129, s[sgprSizeJ]          // coord1 < size1
s_and_b64 s[56:57], s[52:53], s[56:57]             // in0 && in1
_v_add_lshl_u32 v209, v131, v128, 0x2              // scaleToBpe: accumulate d0 lower and *= bpe into Cin addr
v_cndmask_b32 v209, -1, v209, s[56:57]             // LDD clip if OOB. offset
/* (d1,vc1,d0,vc0)=(11,3,1,0) */
s_mov_b32 s52, 128                                 // coordOffset0 d0=1 vc0=0
_v_add_co_u32 v132, vcc, v128, s52                 // coord0.2: coord0 += d0*sg0*VW + vc0
v_cmp_lt_u32 s[52:53], v132, s[sgprSizeI]          // coord0 < size0
v_cmp_lt_u32 s[56:57], v129, s[sgprSizeJ]          // coord1 < size1
s_and_b64 s[56:57], s[52:53], s[56:57]             // in0 && in1
_v_add_lshl_u32 v211, v131, v132, 0x2              // scaleToBpe: accumulate d0 lower and *= bpe into Cin addr
v_cndmask_b32 v211, -1, v211, s[56:57]             // LDD clip if OOB. offset
/* (d1,vc1,d0,vc0)=(12,0,0,0) */
_v_add_co_u32 v129, vcc, v129, 5                   // coord1.1: coord1Vgpr += d1*sg1*VW + vc1

/* Fix for UseInitialStridesCD, emitAddressSetupCode */
s_mul_i32 s52, s[sgprStrideC1J], 5                 // scale stride
_v_add_u32 v130, v130, s52                         // ROWINC- Move cinRowPtr to next row
s_mul_i32 s52, s[sgprStrideD1J], 5                 // scale stride
_v_add_u32 v131, v131, s52                         // Move coutRowPtr to next row
v_cmp_lt_u32 s[52:53], v128, s[sgprSizeI]          // coord0 < size0
v_cmp_lt_u32 s[56:57], v129, s[sgprSizeJ]          // coord1 < size1
s_and_b64 s[56:57], s[52:53], s[56:57]             // in0 && in1
_v_add_lshl_u32 v213, v131, v128, 0x2              // scaleToBpe: accumulate d0 lower and *= bpe into Cin addr
v_cndmask_b32 v213, -1, v213, s[56:57]             // LDD clip if OOB. offset
/* (d1,vc1,d0,vc0)=(12,0,1,0) */
s_mov_b32 s52, 128                                 // coordOffset0 d0=1 vc0=0
_v_add_co_u32 v132, vcc, v128, s52                 // coord0.2: coord0 += d0*sg0*VW + vc0
v_cmp_lt_u32 s[52:53], v132, s[sgprSizeI]          // coord0 < size0
v_cmp_lt_u32 s[56:57], v129, s[sgprSizeJ]          // coord1 < size1
s_and_b64 s[56:57], s[52:53], s[56:57]             // in0 && in1
_v_add_lshl_u32 v215, v131, v132, 0x2              // scaleToBpe: accumulate d0 lower and *= bpe into Cin addr
v_cndmask_b32 v215, -1, v215, s[56:57]             // LDD clip if OOB. offset
/* (d1,vc1,d0,vc0)=(12,1,0,0) */
_v_add_co_u32 v129, vcc, v129, 1                   // coord1.1: coord1Vgpr += d1*sg1*VW + vc1

/* Fix for UseInitialStridesCD, emitAddressSetupCode */
_v_add_u32 v130, v130, s[sgprStrideC1J]            // ROWINC- Move cinRowPtr to next row
_v_add_u32 v131, v131, s[sgprStrideD1J]            // Move coutRowPtr to next row
v_cmp_lt_u32 s[52:53], v128, s[sgprSizeI]          // coord0 < size0
v_cmp_lt_u32 s[56:57], v129, s[sgprSizeJ]          // coord1 < size1
s_and_b64 s[56:57], s[52:53], s[56:57]             // in0 && in1
_v_add_lshl_u32 v217, v131, v128, 0x2              // scaleToBpe: accumulate d0 lower and *= bpe into Cin addr
v_cndmask_b32 v217, -1, v217, s[56:57]             // LDD clip if OOB. offset
/* (d1,vc1,d0,vc0)=(12,1,1,0) */
s_mov_b32 s52, 128                                 // coordOffset0 d0=1 vc0=0
_v_add_co_u32 v132, vcc, v128, s52                 // coord0.2: coord0 += d0*sg0*VW + vc0
v_cmp_lt_u32 s[52:53], v132, s[sgprSizeI]          // coord0 < size0
v_cmp_lt_u32 s[56:57], v129, s[sgprSizeJ]          // coord1 < size1
s_and_b64 s[56:57], s[52:53], s[56:57]             // in0 && in1
_v_add_lshl_u32 v219, v131, v132, 0x2              // scaleToBpe: accumulate d0 lower and *= bpe into Cin addr
v_cndmask_b32 v219, -1, v219, s[56:57]             // LDD clip if OOB. offset
/* (d1,vc1,d0,vc0)=(12,2,0,0) */
_v_add_co_u32 v129, vcc, v129, 1                   // coord1.1: coord1Vgpr += d1*sg1*VW + vc1

/* Fix for UseInitialStridesCD, emitAddressSetupCode */
_v_add_u32 v130, v130, s[sgprStrideC1J]            // ROWINC- Move cinRowPtr to next row
_v_add_u32 v131, v131, s[sgprStrideD1J]            // Move coutRowPtr to next row
	;; [unrolled: 19-line block ×3, first 2 shown]
v_cmp_lt_u32 s[52:53], v128, s[sgprSizeI]          // coord0 < size0
v_cmp_lt_u32 s[56:57], v129, s[sgprSizeJ]          // coord1 < size1
s_and_b64 s[56:57], s[52:53], s[56:57]             // in0 && in1
_v_add_lshl_u32 v225, v131, v128, 0x2              // scaleToBpe: accumulate d0 lower and *= bpe into Cin addr
v_cndmask_b32 v225, -1, v225, s[56:57]             // LDD clip if OOB. offset
/* (d1,vc1,d0,vc0)=(12,3,1,0) */
s_mov_b32 s52, 128                                 // coordOffset0 d0=1 vc0=0
_v_add_co_u32 v132, vcc, v128, s52                 // coord0.2: coord0 += d0*sg0*VW + vc0
v_cmp_lt_u32 s[52:53], v132, s[sgprSizeI]          // coord0 < size0
v_cmp_lt_u32 s[56:57], v129, s[sgprSizeJ]          // coord1 < size1
s_and_b64 s[56:57], s[52:53], s[56:57]             // in0 && in1
_v_add_lshl_u32 v227, v131, v132, 0x2              // scaleToBpe: accumulate d0 lower and *= bpe into Cin addr
v_cndmask_b32 v227, -1, v227, s[56:57]             // LDD clip if OOB. offset
/* (d1,vc1,d0,vc0)=(13,0,0,0) */
_v_add_co_u32 v129, vcc, v129, 5                   // coord1.1: coord1Vgpr += d1*sg1*VW + vc1

/* Fix for UseInitialStridesCD, emitAddressSetupCode */
s_mul_i32 s52, s[sgprStrideC1J], 5                 // scale stride
_v_add_u32 v130, v130, s52                         // ROWINC- Move cinRowPtr to next row
s_mul_i32 s52, s[sgprStrideD1J], 5                 // scale stride
_v_add_u32 v131, v131, s52                         // Move coutRowPtr to next row
v_cmp_lt_u32 s[52:53], v128, s[sgprSizeI]          // coord0 < size0
v_cmp_lt_u32 s[56:57], v129, s[sgprSizeJ]          // coord1 < size1
s_and_b64 s[56:57], s[52:53], s[56:57]             // in0 && in1
_v_add_lshl_u32 v229, v131, v128, 0x2              // scaleToBpe: accumulate d0 lower and *= bpe into Cin addr
v_cndmask_b32 v229, -1, v229, s[56:57]             // LDD clip if OOB. offset
/* (d1,vc1,d0,vc0)=(13,0,1,0) */
s_mov_b32 s52, 128                                 // coordOffset0 d0=1 vc0=0
_v_add_co_u32 v132, vcc, v128, s52                 // coord0.2: coord0 += d0*sg0*VW + vc0
v_cmp_lt_u32 s[52:53], v132, s[sgprSizeI]          // coord0 < size0
v_cmp_lt_u32 s[56:57], v129, s[sgprSizeJ]          // coord1 < size1
s_and_b64 s[56:57], s[52:53], s[56:57]             // in0 && in1
_v_add_lshl_u32 v231, v131, v132, 0x2              // scaleToBpe: accumulate d0 lower and *= bpe into Cin addr
v_cndmask_b32 v231, -1, v231, s[56:57]             // LDD clip if OOB. offset
/* (d1,vc1,d0,vc0)=(13,1,0,0) */
_v_add_co_u32 v129, vcc, v129, 1                   // coord1.1: coord1Vgpr += d1*sg1*VW + vc1

/* Fix for UseInitialStridesCD, emitAddressSetupCode */
_v_add_u32 v130, v130, s[sgprStrideC1J]            // ROWINC- Move cinRowPtr to next row
_v_add_u32 v131, v131, s[sgprStrideD1J]            // Move coutRowPtr to next row
v_cmp_lt_u32 s[52:53], v128, s[sgprSizeI]          // coord0 < size0
v_cmp_lt_u32 s[56:57], v129, s[sgprSizeJ]          // coord1 < size1
s_and_b64 s[56:57], s[52:53], s[56:57]             // in0 && in1
_v_add_lshl_u32 v233, v131, v128, 0x2              // scaleToBpe: accumulate d0 lower and *= bpe into Cin addr
v_cndmask_b32 v233, -1, v233, s[56:57]             // LDD clip if OOB. offset
/* (d1,vc1,d0,vc0)=(13,1,1,0) */
s_mov_b32 s52, 128                                 // coordOffset0 d0=1 vc0=0
_v_add_co_u32 v132, vcc, v128, s52                 // coord0.2: coord0 += d0*sg0*VW + vc0
v_cmp_lt_u32 s[52:53], v132, s[sgprSizeI]          // coord0 < size0
v_cmp_lt_u32 s[56:57], v129, s[sgprSizeJ]          // coord1 < size1
s_and_b64 s[56:57], s[52:53], s[56:57]             // in0 && in1
_v_add_lshl_u32 v235, v131, v132, 0x2              // scaleToBpe: accumulate d0 lower and *= bpe into Cin addr
v_cndmask_b32 v235, -1, v235, s[56:57]             // LDD clip if OOB. offset
/* (d1,vc1,d0,vc0)=(13,2,0,0) */
_v_add_co_u32 v129, vcc, v129, 1                   // coord1.1: coord1Vgpr += d1*sg1*VW + vc1

/* Fix for UseInitialStridesCD, emitAddressSetupCode */
_v_add_u32 v130, v130, s[sgprStrideC1J]            // ROWINC- Move cinRowPtr to next row
_v_add_u32 v131, v131, s[sgprStrideD1J]            // Move coutRowPtr to next row
	;; [unrolled: 19-line block ×3, first 2 shown]
v_cmp_lt_u32 s[52:53], v128, s[sgprSizeI]          // coord0 < size0
v_cmp_lt_u32 s[56:57], v129, s[sgprSizeJ]          // coord1 < size1
s_and_b64 s[56:57], s[52:53], s[56:57]             // in0 && in1
_v_add_lshl_u32 v241, v131, v128, 0x2              // scaleToBpe: accumulate d0 lower and *= bpe into Cin addr
v_cndmask_b32 v241, -1, v241, s[56:57]             // LDD clip if OOB. offset
/* (d1,vc1,d0,vc0)=(13,3,1,0) */
s_mov_b32 s52, 128                                 // coordOffset0 d0=1 vc0=0
_v_add_co_u32 v132, vcc, v128, s52                 // coord0.2: coord0 += d0*sg0*VW + vc0
v_cmp_lt_u32 s[52:53], v132, s[sgprSizeI]          // coord0 < size0
v_cmp_lt_u32 s[56:57], v129, s[sgprSizeJ]          // coord1 < size1
s_and_b64 s[56:57], s[52:53], s[56:57]             // in0 && in1
_v_add_lshl_u32 v243, v131, v132, 0x2              // scaleToBpe: accumulate d0 lower and *= bpe into Cin addr
v_cndmask_b32 v243, -1, v243, s[56:57]             // LDD clip if OOB. offset
/* (d1,vc1,d0,vc0)=(14,0,0,0) */
_v_add_co_u32 v129, vcc, v129, 5                   // coord1.1: coord1Vgpr += d1*sg1*VW + vc1

/* Fix for UseInitialStridesCD, emitAddressSetupCode */
s_mul_i32 s52, s[sgprStrideC1J], 5                 // scale stride
_v_add_u32 v130, v130, s52                         // ROWINC- Move cinRowPtr to next row
s_mul_i32 s52, s[sgprStrideD1J], 5                 // scale stride
_v_add_u32 v131, v131, s52                         // Move coutRowPtr to next row
v_cmp_lt_u32 s[52:53], v128, s[sgprSizeI]          // coord0 < size0
v_cmp_lt_u32 s[56:57], v129, s[sgprSizeJ]          // coord1 < size1
s_and_b64 s[56:57], s[52:53], s[56:57]             // in0 && in1
_v_add_lshl_u32 v245, v131, v128, 0x2              // scaleToBpe: accumulate d0 lower and *= bpe into Cin addr
v_cndmask_b32 v245, -1, v245, s[56:57]             // LDD clip if OOB. offset
/* (d1,vc1,d0,vc0)=(14,0,1,0) */
s_mov_b32 s52, 128                                 // coordOffset0 d0=1 vc0=0
_v_add_co_u32 v132, vcc, v128, s52                 // coord0.2: coord0 += d0*sg0*VW + vc0
v_cmp_lt_u32 s[52:53], v132, s[sgprSizeI]          // coord0 < size0
v_cmp_lt_u32 s[56:57], v129, s[sgprSizeJ]          // coord1 < size1
s_and_b64 s[56:57], s[52:53], s[56:57]             // in0 && in1
_v_add_lshl_u32 v247, v131, v132, 0x2              // scaleToBpe: accumulate d0 lower and *= bpe into Cin addr
v_cndmask_b32 v247, -1, v247, s[56:57]             // LDD clip if OOB. offset
/* (d1,vc1,d0,vc0)=(14,1,0,0) */
_v_add_co_u32 v129, vcc, v129, 1                   // coord1.1: coord1Vgpr += d1*sg1*VW + vc1

/* Fix for UseInitialStridesCD, emitAddressSetupCode */
_v_add_u32 v130, v130, s[sgprStrideC1J]            // ROWINC- Move cinRowPtr to next row
_v_add_u32 v131, v131, s[sgprStrideD1J]            // Move coutRowPtr to next row
v_cmp_lt_u32 s[52:53], v128, s[sgprSizeI]          // coord0 < size0
v_cmp_lt_u32 s[56:57], v129, s[sgprSizeJ]          // coord1 < size1
s_and_b64 s[56:57], s[52:53], s[56:57]             // in0 && in1
_v_add_lshl_u32 v249, v131, v128, 0x2              // scaleToBpe: accumulate d0 lower and *= bpe into Cin addr
v_cndmask_b32 v249, -1, v249, s[56:57]             // LDD clip if OOB. offset
/* (d1,vc1,d0,vc0)=(14,1,1,0) */
s_mov_b32 s52, 128                                 // coordOffset0 d0=1 vc0=0
_v_add_co_u32 v132, vcc, v128, s52                 // coord0.2: coord0 += d0*sg0*VW + vc0
v_cmp_lt_u32 s[52:53], v132, s[sgprSizeI]          // coord0 < size0
v_cmp_lt_u32 s[56:57], v129, s[sgprSizeJ]          // coord1 < size1
s_and_b64 s[56:57], s[52:53], s[56:57]             // in0 && in1
_v_add_lshl_u32 v251, v131, v132, 0x2              // scaleToBpe: accumulate d0 lower and *= bpe into Cin addr
v_cndmask_b32 v251, -1, v251, s[56:57]             // LDD clip if OOB. offset

/* rC *= alpha batchElements=[(7, 0, 1, 0), (7, 1, 1, 0), (7, 0, 2, 0), (7, 1, 2, 0), (7, 0, 3, 0), (7, 1, 3, 0), (8, 0, 0, 0), (8, 1, 0, 0), (8, 0, 1, 0), (8, 1, 1, 0), (8, 0, 2, 0), (8, 1, 2, 0), (8, 0, 3, 0), (8, 1, 3, 0), (9, 0, 0, 0), (9, 1, 0, 0), (9, 0, 1, 0), (9, 1, 1, 0), (9, 0, 2, 0), (9, 1, 2, 0), (9, 0, 3, 0), (9, 1, 3, 0), (10, 0, 0, 0), (10, 1, 0, 0), (10, 0, 1, 0), (10, 1, 1, 0), (10, 0, 2, 0), (10, 1, 2, 0), (10, 0, 3, 0), (10, 1, 3, 0), (11, 0, 0, 0), (11, 1, 0, 0), (11, 0, 1, 0), (11, 1, 1, 0), (11, 0, 2, 0), (11, 1, 2, 0), (11, 0, 3, 0), (11, 1, 3, 0), (12, 0, 0, 0), (12, 1, 0, 0), (12, 0, 1, 0), (12, 1, 1, 0), (12, 0, 2, 0), (12, 1, 2, 0), (12, 0, 3, 0), (12, 1, 3, 0), (13, 0, 0, 0), (13, 1, 0, 0), (13, 0, 1, 0), (13, 1, 1, 0), (13, 0, 2, 0), (13, 1, 2, 0), (13, 0, 3, 0), (13, 1, 3, 0), (14, 0, 0, 0), (14, 1, 0, 0), (14, 0, 1, 0), (14, 1, 1, 0)] */
v_mul_f32 v[vgprValuC+135], s[sgprAlpha], v[vgprValuC+45] // Multiply MI out reg with alpha
v_mul_f32 v[vgprValuC+137], s[sgprAlpha], v[vgprValuC+61] // Multiply MI out reg with alpha
v_mul_f32 v[vgprValuC+139], s[sgprAlpha], v[vgprValuC+46] // Multiply MI out reg with alpha
v_mul_f32 v[vgprValuC+141], s[sgprAlpha], v[vgprValuC+62] // Multiply MI out reg with alpha
v_mul_f32 v[vgprValuC+143], s[sgprAlpha], v[vgprValuC+47] // Multiply MI out reg with alpha
v_mul_f32 v[vgprValuC+145], s[sgprAlpha], v[vgprValuC+63] // Multiply MI out reg with alpha
v_mul_f32 v[vgprValuC+147], s[sgprAlpha], v[vgprValuC+64] // Multiply MI out reg with alpha
v_mul_f32 v[vgprValuC+149], s[sgprAlpha], v[vgprValuC+80] // Multiply MI out reg with alpha
v_mul_f32 v[vgprValuC+151], s[sgprAlpha], v[vgprValuC+65] // Multiply MI out reg with alpha
v_mul_f32 v[vgprValuC+153], s[sgprAlpha], v[vgprValuC+81] // Multiply MI out reg with alpha
v_mul_f32 v[vgprValuC+155], s[sgprAlpha], v[vgprValuC+66] // Multiply MI out reg with alpha
v_mul_f32 v[vgprValuC+157], s[sgprAlpha], v[vgprValuC+82] // Multiply MI out reg with alpha
v_mul_f32 v[vgprValuC+159], s[sgprAlpha], v[vgprValuC+67] // Multiply MI out reg with alpha
v_mul_f32 v[vgprValuC+161], s[sgprAlpha], v[vgprValuC+83] // Multiply MI out reg with alpha
v_mul_f32 v[vgprValuC+163], s[sgprAlpha], v[vgprValuC+68] // Multiply MI out reg with alpha
v_mul_f32 v[vgprValuC+165], s[sgprAlpha], v[vgprValuC+84] // Multiply MI out reg with alpha
v_mul_f32 v[vgprValuC+167], s[sgprAlpha], v[vgprValuC+69] // Multiply MI out reg with alpha
v_mul_f32 v[vgprValuC+169], s[sgprAlpha], v[vgprValuC+85] // Multiply MI out reg with alpha
v_mul_f32 v[vgprValuC+174], s[sgprAlpha], v[vgprValuC+70] // Multiply MI out reg with alpha
v_mul_f32 v[vgprValuC+176], s[sgprAlpha], v[vgprValuC+86] // Multiply MI out reg with alpha
v_mul_f32 v[vgprValuC+178], s[sgprAlpha], v[vgprValuC+71] // Multiply MI out reg with alpha
v_mul_f32 v[vgprValuC+180], s[sgprAlpha], v[vgprValuC+87] // Multiply MI out reg with alpha
v_mul_f32 v[vgprValuC+182], s[sgprAlpha], v[vgprValuC+72] // Multiply MI out reg with alpha
v_mul_f32 v[vgprValuC+184], s[sgprAlpha], v[vgprValuC+88] // Multiply MI out reg with alpha
v_mul_f32 v[vgprValuC+186], s[sgprAlpha], v[vgprValuC+73] // Multiply MI out reg with alpha
v_mul_f32 v[vgprValuC+188], s[sgprAlpha], v[vgprValuC+89] // Multiply MI out reg with alpha
v_mul_f32 v[vgprValuC+190], s[sgprAlpha], v[vgprValuC+74] // Multiply MI out reg with alpha
v_mul_f32 v[vgprValuC+192], s[sgprAlpha], v[vgprValuC+90] // Multiply MI out reg with alpha
v_mul_f32 v[vgprValuC+194], s[sgprAlpha], v[vgprValuC+75] // Multiply MI out reg with alpha
v_mul_f32 v[vgprValuC+196], s[sgprAlpha], v[vgprValuC+91] // Multiply MI out reg with alpha
v_mul_f32 v[vgprValuC+198], s[sgprAlpha], v[vgprValuC+76] // Multiply MI out reg with alpha
v_mul_f32 v[vgprValuC+200], s[sgprAlpha], v[vgprValuC+92] // Multiply MI out reg with alpha
v_mul_f32 v[vgprValuC+202], s[sgprAlpha], v[vgprValuC+77] // Multiply MI out reg with alpha
v_mul_f32 v[vgprValuC+204], s[sgprAlpha], v[vgprValuC+93] // Multiply MI out reg with alpha
v_mul_f32 v[vgprValuC+206], s[sgprAlpha], v[vgprValuC+78] // Multiply MI out reg with alpha
v_mul_f32 v[vgprValuC+208], s[sgprAlpha], v[vgprValuC+94] // Multiply MI out reg with alpha
v_mul_f32 v[vgprValuC+210], s[sgprAlpha], v[vgprValuC+79] // Multiply MI out reg with alpha
v_mul_f32 v[vgprValuC+212], s[sgprAlpha], v[vgprValuC+95] // Multiply MI out reg with alpha
v_mul_f32 v[vgprValuC+214], s[sgprAlpha], v[vgprValuC+96] // Multiply MI out reg with alpha
v_mul_f32 v[vgprValuC+216], s[sgprAlpha], v[vgprValuC+112] // Multiply MI out reg with alpha
v_mul_f32 v[vgprValuC+218], s[sgprAlpha], v[vgprValuC+97] // Multiply MI out reg with alpha
v_mul_f32 v[vgprValuC+220], s[sgprAlpha], v[vgprValuC+113] // Multiply MI out reg with alpha
v_mul_f32 v[vgprValuC+222], s[sgprAlpha], v[vgprValuC+98] // Multiply MI out reg with alpha
v_mul_f32 v[vgprValuC+224], s[sgprAlpha], v[vgprValuC+114] // Multiply MI out reg with alpha
v_mul_f32 v[vgprValuC+226], s[sgprAlpha], v[vgprValuC+99] // Multiply MI out reg with alpha
v_mul_f32 v[vgprValuC+228], s[sgprAlpha], v[vgprValuC+115] // Multiply MI out reg with alpha
v_mul_f32 v[vgprValuC+230], s[sgprAlpha], v[vgprValuC+100] // Multiply MI out reg with alpha
v_mul_f32 v[vgprValuC+232], s[sgprAlpha], v[vgprValuC+116] // Multiply MI out reg with alpha
v_mul_f32 v[vgprValuC+234], s[sgprAlpha], v[vgprValuC+101] // Multiply MI out reg with alpha
v_mul_f32 v[vgprValuC+236], s[sgprAlpha], v[vgprValuC+117] // Multiply MI out reg with alpha
v_mul_f32 v[vgprValuC+238], s[sgprAlpha], v[vgprValuC+102] // Multiply MI out reg with alpha
v_mul_f32 v[vgprValuC+240], s[sgprAlpha], v[vgprValuC+118] // Multiply MI out reg with alpha
v_mul_f32 v[vgprValuC+242], s[sgprAlpha], v[vgprValuC+103] // Multiply MI out reg with alpha
v_mul_f32 v[vgprValuC+244], s[sgprAlpha], v[vgprValuC+119] // Multiply MI out reg with alpha
v_mul_f32 v[vgprValuC+246], s[sgprAlpha], v[vgprValuC+104] // Multiply MI out reg with alpha
v_mul_f32 v[vgprValuC+248], s[sgprAlpha], v[vgprValuC+120] // Multiply MI out reg with alpha
v_mul_f32 v[vgprValuC+250], s[sgprAlpha], v[vgprValuC+105] // Multiply MI out reg with alpha
v_mul_f32 v[vgprValuC+252], s[sgprAlpha], v[vgprValuC+121] // Multiply MI out reg with alpha

/* apply mask, calc new C and issue writes */
_buffer_store_b32 v135, v134, s[sgprSrdD:sgprSrdD+3], 0, offen, offset:0,  glc slc // store D
_buffer_store_b32 v137, v136, s[sgprSrdD:sgprSrdD+3], 0, offen, offset:0,  glc slc // store D
	;; [unrolled: 1-line block ×58, first 2 shown]
s_nop 0                                            // 1 wait state required when next inst writes vgprs held by previous dwordx4 store inst
/* optSingleColVgpr=0 optSharedColVgpr=0 optSGPRUsage=BufferLoad_Edge_Mask optSrdIncForRow=0 */
s_sleep 1 // optimization: sync and wait
s_barrier

/******************************************/
/* Global Write Alpha Edge Batch #2 (d1,d0,vc1,vc0) = */
/*    (14,0,2,0:vw1); (14,1,2,0:vw1); (14,0,3,0:vw1); (14,1,3,0:vw1); (15,0,0,0:vw1); (15,1,0,0:vw1); (15,0,1,0:vw1); (15,1,1,0:vw1); (15,0,2,0:vw1); (15,1,2,0:vw1); (15,0,3,0:vw1); (15,1,3,0:vw1) */
/******************************************/

/* calc coords, apply mask, and issue loads (if necessary) */
/* (d1,vc1,d0,vc0)=(14,2,0,0) */
_v_add_co_u32 v129, vcc, v129, 1                   // coord1.1: coord1Vgpr += d1*sg1*VW + vc1

/* Fix for UseInitialStridesCD, emitAddressSetupCode */
_v_add_u32 v130, v130, s[sgprStrideC1J]            // ROWINC- Move cinRowPtr to next row
_v_add_u32 v131, v131, s[sgprStrideD1J]            // Move coutRowPtr to next row
v_cmp_lt_u32 s[52:53], v128, s[sgprSizeI]          // coord0 < size0
v_cmp_lt_u32 s[56:57], v129, s[sgprSizeJ]          // coord1 < size1
s_and_b64 s[56:57], s[52:53], s[56:57]             // in0 && in1
_v_add_lshl_u32 v134, v131, v128, 0x2              // scaleToBpe: accumulate d0 lower and *= bpe into Cin addr
v_cndmask_b32 v134, -1, v134, s[56:57]             // LDD clip if OOB. offset
/* (d1,vc1,d0,vc0)=(14,2,1,0) */
s_mov_b32 s52, 128                                 // coordOffset0 d0=1 vc0=0
_v_add_co_u32 v132, vcc, v128, s52                 // coord0.2: coord0 += d0*sg0*VW + vc0
v_cmp_lt_u32 s[52:53], v132, s[sgprSizeI]          // coord0 < size0
v_cmp_lt_u32 s[56:57], v129, s[sgprSizeJ]          // coord1 < size1
s_and_b64 s[56:57], s[52:53], s[56:57]             // in0 && in1
_v_add_lshl_u32 v136, v131, v132, 0x2              // scaleToBpe: accumulate d0 lower and *= bpe into Cin addr
v_cndmask_b32 v136, -1, v136, s[56:57]             // LDD clip if OOB. offset
/* (d1,vc1,d0,vc0)=(14,3,0,0) */
_v_add_co_u32 v129, vcc, v129, 1                   // coord1.1: coord1Vgpr += d1*sg1*VW + vc1

/* Fix for UseInitialStridesCD, emitAddressSetupCode */
_v_add_u32 v130, v130, s[sgprStrideC1J]            // ROWINC- Move cinRowPtr to next row
_v_add_u32 v131, v131, s[sgprStrideD1J]            // Move coutRowPtr to next row
v_cmp_lt_u32 s[52:53], v128, s[sgprSizeI]          // coord0 < size0
v_cmp_lt_u32 s[56:57], v129, s[sgprSizeJ]          // coord1 < size1
s_and_b64 s[56:57], s[52:53], s[56:57]             // in0 && in1
_v_add_lshl_u32 v138, v131, v128, 0x2              // scaleToBpe: accumulate d0 lower and *= bpe into Cin addr
v_cndmask_b32 v138, -1, v138, s[56:57]             // LDD clip if OOB. offset
/* (d1,vc1,d0,vc0)=(14,3,1,0) */
s_mov_b32 s52, 128                                 // coordOffset0 d0=1 vc0=0
_v_add_co_u32 v132, vcc, v128, s52                 // coord0.2: coord0 += d0*sg0*VW + vc0
v_cmp_lt_u32 s[52:53], v132, s[sgprSizeI]          // coord0 < size0
v_cmp_lt_u32 s[56:57], v129, s[sgprSizeJ]          // coord1 < size1
s_and_b64 s[56:57], s[52:53], s[56:57]             // in0 && in1
_v_add_lshl_u32 v140, v131, v132, 0x2              // scaleToBpe: accumulate d0 lower and *= bpe into Cin addr
v_cndmask_b32 v140, -1, v140, s[56:57]             // LDD clip if OOB. offset
/* (d1,vc1,d0,vc0)=(15,0,0,0) */
_v_add_co_u32 v129, vcc, v129, 5                   // coord1.1: coord1Vgpr += d1*sg1*VW + vc1

/* Fix for UseInitialStridesCD, emitAddressSetupCode */
s_mul_i32 s52, s[sgprStrideC1J], 5                 // scale stride
_v_add_u32 v130, v130, s52                         // ROWINC- Move cinRowPtr to next row
s_mul_i32 s52, s[sgprStrideD1J], 5                 // scale stride
_v_add_u32 v131, v131, s52                         // Move coutRowPtr to next row
v_cmp_lt_u32 s[52:53], v128, s[sgprSizeI]          // coord0 < size0
v_cmp_lt_u32 s[56:57], v129, s[sgprSizeJ]          // coord1 < size1
s_and_b64 s[56:57], s[52:53], s[56:57]             // in0 && in1
_v_add_lshl_u32 v142, v131, v128, 0x2              // scaleToBpe: accumulate d0 lower and *= bpe into Cin addr
v_cndmask_b32 v142, -1, v142, s[56:57]             // LDD clip if OOB. offset
/* (d1,vc1,d0,vc0)=(15,0,1,0) */
s_mov_b32 s52, 128                                 // coordOffset0 d0=1 vc0=0
_v_add_co_u32 v132, vcc, v128, s52                 // coord0.2: coord0 += d0*sg0*VW + vc0
v_cmp_lt_u32 s[52:53], v132, s[sgprSizeI]          // coord0 < size0
v_cmp_lt_u32 s[56:57], v129, s[sgprSizeJ]          // coord1 < size1
s_and_b64 s[56:57], s[52:53], s[56:57]             // in0 && in1
_v_add_lshl_u32 v144, v131, v132, 0x2              // scaleToBpe: accumulate d0 lower and *= bpe into Cin addr
v_cndmask_b32 v144, -1, v144, s[56:57]             // LDD clip if OOB. offset
/* (d1,vc1,d0,vc0)=(15,1,0,0) */
_v_add_co_u32 v129, vcc, v129, 1                   // coord1.1: coord1Vgpr += d1*sg1*VW + vc1

/* Fix for UseInitialStridesCD, emitAddressSetupCode */
_v_add_u32 v130, v130, s[sgprStrideC1J]            // ROWINC- Move cinRowPtr to next row
_v_add_u32 v131, v131, s[sgprStrideD1J]            // Move coutRowPtr to next row
v_cmp_lt_u32 s[52:53], v128, s[sgprSizeI]          // coord0 < size0
v_cmp_lt_u32 s[56:57], v129, s[sgprSizeJ]          // coord1 < size1
s_and_b64 s[56:57], s[52:53], s[56:57]             // in0 && in1
_v_add_lshl_u32 v146, v131, v128, 0x2              // scaleToBpe: accumulate d0 lower and *= bpe into Cin addr
v_cndmask_b32 v146, -1, v146, s[56:57]             // LDD clip if OOB. offset
/* (d1,vc1,d0,vc0)=(15,1,1,0) */
s_mov_b32 s52, 128                                 // coordOffset0 d0=1 vc0=0
_v_add_co_u32 v132, vcc, v128, s52                 // coord0.2: coord0 += d0*sg0*VW + vc0
v_cmp_lt_u32 s[52:53], v132, s[sgprSizeI]          // coord0 < size0
v_cmp_lt_u32 s[56:57], v129, s[sgprSizeJ]          // coord1 < size1
s_and_b64 s[56:57], s[52:53], s[56:57]             // in0 && in1
_v_add_lshl_u32 v148, v131, v132, 0x2              // scaleToBpe: accumulate d0 lower and *= bpe into Cin addr
v_cndmask_b32 v148, -1, v148, s[56:57]             // LDD clip if OOB. offset
/* (d1,vc1,d0,vc0)=(15,2,0,0) */
_v_add_co_u32 v129, vcc, v129, 1                   // coord1.1: coord1Vgpr += d1*sg1*VW + vc1

/* Fix for UseInitialStridesCD, emitAddressSetupCode */
_v_add_u32 v130, v130, s[sgprStrideC1J]            // ROWINC- Move cinRowPtr to next row
_v_add_u32 v131, v131, s[sgprStrideD1J]            // Move coutRowPtr to next row
	;; [unrolled: 19-line block ×3, first 2 shown]
v_cmp_lt_u32 s[52:53], v128, s[sgprSizeI]          // coord0 < size0
v_cmp_lt_u32 s[56:57], v129, s[sgprSizeJ]          // coord1 < size1
s_and_b64 s[56:57], s[52:53], s[56:57]             // in0 && in1
_v_add_lshl_u32 v154, v131, v128, 0x2              // scaleToBpe: accumulate d0 lower and *= bpe into Cin addr
v_cndmask_b32 v154, -1, v154, s[56:57]             // LDD clip if OOB. offset
/* (d1,vc1,d0,vc0)=(15,3,1,0) */
s_mov_b32 s52, 128                                 // coordOffset0 d0=1 vc0=0
_v_add_co_u32 v132, vcc, v128, s52                 // coord0.2: coord0 += d0*sg0*VW + vc0
v_cmp_lt_u32 s[52:53], v132, s[sgprSizeI]          // coord0 < size0
v_cmp_lt_u32 s[56:57], v129, s[sgprSizeJ]          // coord1 < size1
s_and_b64 s[56:57], s[52:53], s[56:57]             // in0 && in1
_v_add_lshl_u32 v156, v131, v132, 0x2              // scaleToBpe: accumulate d0 lower and *= bpe into Cin addr
v_cndmask_b32 v156, -1, v156, s[56:57]             // LDD clip if OOB. offset

/* rC *= alpha batchElements=[(14, 0, 2, 0), (14, 1, 2, 0), (14, 0, 3, 0), (14, 1, 3, 0), (15, 0, 0, 0), (15, 1, 0, 0), (15, 0, 1, 0), (15, 1, 1, 0), (15, 0, 2, 0), (15, 1, 2, 0), (15, 0, 3, 0), (15, 1, 3, 0)] */
v_mul_f32 v[vgprValuC+135], s[sgprAlpha], v[vgprValuC+106] // Multiply MI out reg with alpha
v_mul_f32 v[vgprValuC+137], s[sgprAlpha], v[vgprValuC+122] // Multiply MI out reg with alpha
	;; [unrolled: 1-line block ×12, first 2 shown]

/* apply mask, calc new C and issue writes */
_buffer_store_b32 v135, v134, s[sgprSrdD:sgprSrdD+3], 0, offen, offset:0,  glc slc // store D
_buffer_store_b32 v137, v136, s[sgprSrdD:sgprSrdD+3], 0, offen, offset:0,  glc slc // store D
	;; [unrolled: 1-line block ×12, first 2 shown]
s_nop 0                                            // 1 wait state required when next inst writes vgprs held by previous dwordx4 store inst
s_branch label_GW_End_348                          // jump to end
GW_Beta_349:
s_and_b32 s32, 255, s[sgprSizeI]                   // s32 = s[sgprSizeI] % 256
s_add_u32 s33, -0x1, s[sgprNumWorkGroups0]         // 
s_cmp_ge_u32 s[sgprWorkGroup0], s33                // wg0 >= nwg0-1 ?
s_cselect_b32 s32, s32, 0                          // set rMT0
s_cmpk_gt_u32 s32, 0x0                             // rMT0 > 0
s_cbranch_scc1 GW_B1_E1_347                        // jump if edges required
s_and_b32 s32, 127, s[sgprSizeJ]                   // s32 = s[sgprSizeJ] % 128
s_add_u32 s33, -0x1, s[sgprNumWorkGroups1]         // 
s_cmp_ge_u32 s[sgprWorkGroup1], s33                // wg1 >= nwg1-1
s_cselect_b32 s32, s32, 0                          // set rMT1
s_cmpk_gt_u32 s32, 0x0                             // rMT1 > 0
s_cbranch_scc1 GW_B1_E1_347                        // jump if edges required
GW_B1_E0_344:

/* edge=0, allocate 2 sgpr. perBatchTmpS=2 perBatchMaskS=0 perElementMaskS=0 elementsPerBatch=58 */
/* optSingleColVgpr=1 optSharedColVgpr=0 optSGPRUsage=BufferLoad_Mask optSrdIncForRow=1 */
s_sleep 1 // optimization: sync and wait
s_barrier

/******************************************/
/* Global Write Alpha Beta Batch #0 (d1,d0,vc1,vc0) = */
/*    (0,0,0,0:vw1); (0,1,0,0:vw1); (0,0,1,0:vw1); (0,1,1,0:vw1); (0,0,2,0:vw1); (0,1,2,0:vw1); (0,0,3,0:vw1); (0,1,3,0:vw1); (1,0,0,0:vw1); (1,1,0,0:vw1); (1,0,1,0:vw1); (1,1,1,0:vw1); (1,0,2,0:vw1); (1,1,2,0:vw1); (1,0,3,0:vw1); (1,1,3,0:vw1); (2,0,0,0:vw1); (2,1,0,0:vw1); (2,0,1,0:vw1); (2,1,1,0:vw1); (2,0,2,0:vw1); (2,1,2,0:vw1); (2,0,3,0:vw1); (2,1,3,0:vw1); (3,0,0,0:vw1); (3,1,0,0:vw1); (3,0,1,0:vw1); (3,1,1,0:vw1); (3,0,2,0:vw1); (3,1,2,0:vw1); (3,0,3,0:vw1); (3,1,3,0:vw1); (4,0,0,0:vw1); (4,1,0,0:vw1); (4,0,1,0:vw1); (4,1,1,0:vw1); (4,0,2,0:vw1); (4,1,2,0:vw1); (4,0,3,0:vw1); (4,1,3,0:vw1); (5,0,0,0:vw1); (5,1,0,0:vw1); (5,0,1,0:vw1); (5,1,1,0:vw1); (5,0,2,0:vw1); (5,1,2,0:vw1); (5,0,3,0:vw1); (5,1,3,0:vw1); (6,0,0,0:vw1); (6,1,0,0:vw1); (6,0,1,0:vw1); (6,1,1,0:vw1); (6,0,2,0:vw1); (6,1,2,0:vw1); (6,0,3,0:vw1); (6,1,3,0:vw1); (7,0,0,0:vw1); (7,1,0,0:vw1) */
/******************************************/

/* calc coords, apply mask, and issue loads (if necessary) */

/* rC *= alpha batchElements=[(0, 0, 0, 0), (0, 1, 0, 0), (0, 0, 1, 0), (0, 1, 1, 0), (0, 0, 2, 0), (0, 1, 2, 0), (0, 0, 3, 0), (0, 1, 3, 0), (1, 0, 0, 0), (1, 1, 0, 0), (1, 0, 1, 0), (1, 1, 1, 0), (1, 0, 2, 0), (1, 1, 2, 0), (1, 0, 3, 0), (1, 1, 3, 0), (2, 0, 0, 0), (2, 1, 0, 0), (2, 0, 1, 0), (2, 1, 1, 0), (2, 0, 2, 0), (2, 1, 2, 0), (2, 0, 3, 0), (2, 1, 3, 0), (3, 0, 0, 0), (3, 1, 0, 0), (3, 0, 1, 0), (3, 1, 1, 0), (3, 0, 2, 0), (3, 1, 2, 0), (3, 0, 3, 0), (3, 1, 3, 0), (4, 0, 0, 0), (4, 1, 0, 0), (4, 0, 1, 0), (4, 1, 1, 0), (4, 0, 2, 0), (4, 1, 2, 0), (4, 0, 3, 0), (4, 1, 3, 0), (5, 0, 0, 0), (5, 1, 0, 0), (5, 0, 1, 0), (5, 1, 1, 0), (5, 0, 2, 0), (5, 1, 2, 0), (5, 0, 3, 0), (5, 1, 3, 0), (6, 0, 0, 0), (6, 1, 0, 0), (6, 0, 1, 0), (6, 1, 1, 0), (6, 0, 2, 0), (6, 1, 2, 0), (6, 0, 3, 0), (6, 1, 3, 0), (7, 0, 0, 0), (7, 1, 0, 0)] */
v_mul_f32 v[vgprValuC+137], s[sgprAlpha], v[vgprValuC+0] // Multiply MI out reg with alpha
v_mul_f32 v[vgprValuC+139], s[sgprAlpha], v[vgprValuC+16] // Multiply MI out reg with alpha
v_mul_f32 v[vgprValuC+141], s[sgprAlpha], v[vgprValuC+1] // Multiply MI out reg with alpha
v_mul_f32 v[vgprValuC+143], s[sgprAlpha], v[vgprValuC+17] // Multiply MI out reg with alpha
v_mul_f32 v[vgprValuC+145], s[sgprAlpha], v[vgprValuC+2] // Multiply MI out reg with alpha
v_mul_f32 v[vgprValuC+147], s[sgprAlpha], v[vgprValuC+18] // Multiply MI out reg with alpha
v_mul_f32 v[vgprValuC+149], s[sgprAlpha], v[vgprValuC+3] // Multiply MI out reg with alpha
v_mul_f32 v[vgprValuC+151], s[sgprAlpha], v[vgprValuC+19] // Multiply MI out reg with alpha
v_mul_f32 v[vgprValuC+153], s[sgprAlpha], v[vgprValuC+4] // Multiply MI out reg with alpha
v_mul_f32 v[vgprValuC+155], s[sgprAlpha], v[vgprValuC+20] // Multiply MI out reg with alpha
v_mul_f32 v[vgprValuC+157], s[sgprAlpha], v[vgprValuC+5] // Multiply MI out reg with alpha
v_mul_f32 v[vgprValuC+159], s[sgprAlpha], v[vgprValuC+21] // Multiply MI out reg with alpha
v_mul_f32 v[vgprValuC+161], s[sgprAlpha], v[vgprValuC+6] // Multiply MI out reg with alpha
v_mul_f32 v[vgprValuC+163], s[sgprAlpha], v[vgprValuC+22] // Multiply MI out reg with alpha
v_mul_f32 v[vgprValuC+165], s[sgprAlpha], v[vgprValuC+7] // Multiply MI out reg with alpha
v_mul_f32 v[vgprValuC+167], s[sgprAlpha], v[vgprValuC+23] // Multiply MI out reg with alpha
v_mul_f32 v[vgprValuC+169], s[sgprAlpha], v[vgprValuC+8] // Multiply MI out reg with alpha
v_mul_f32 v[vgprValuC+174], s[sgprAlpha], v[vgprValuC+24] // Multiply MI out reg with alpha
v_mul_f32 v[vgprValuC+176], s[sgprAlpha], v[vgprValuC+9] // Multiply MI out reg with alpha
v_mul_f32 v[vgprValuC+178], s[sgprAlpha], v[vgprValuC+25] // Multiply MI out reg with alpha
v_mul_f32 v[vgprValuC+180], s[sgprAlpha], v[vgprValuC+10] // Multiply MI out reg with alpha
v_mul_f32 v[vgprValuC+182], s[sgprAlpha], v[vgprValuC+26] // Multiply MI out reg with alpha
v_mul_f32 v[vgprValuC+184], s[sgprAlpha], v[vgprValuC+11] // Multiply MI out reg with alpha
v_mul_f32 v[vgprValuC+186], s[sgprAlpha], v[vgprValuC+27] // Multiply MI out reg with alpha
v_mul_f32 v[vgprValuC+188], s[sgprAlpha], v[vgprValuC+12] // Multiply MI out reg with alpha
v_mul_f32 v[vgprValuC+190], s[sgprAlpha], v[vgprValuC+28] // Multiply MI out reg with alpha
v_mul_f32 v[vgprValuC+192], s[sgprAlpha], v[vgprValuC+13] // Multiply MI out reg with alpha
v_mul_f32 v[vgprValuC+194], s[sgprAlpha], v[vgprValuC+29] // Multiply MI out reg with alpha
v_mul_f32 v[vgprValuC+196], s[sgprAlpha], v[vgprValuC+14] // Multiply MI out reg with alpha
v_mul_f32 v[vgprValuC+198], s[sgprAlpha], v[vgprValuC+30] // Multiply MI out reg with alpha
v_mul_f32 v[vgprValuC+200], s[sgprAlpha], v[vgprValuC+15] // Multiply MI out reg with alpha
v_mul_f32 v[vgprValuC+202], s[sgprAlpha], v[vgprValuC+31] // Multiply MI out reg with alpha
v_mul_f32 v[vgprValuC+204], s[sgprAlpha], v[vgprValuC+32] // Multiply MI out reg with alpha
v_mul_f32 v[vgprValuC+206], s[sgprAlpha], v[vgprValuC+48] // Multiply MI out reg with alpha
v_mul_f32 v[vgprValuC+208], s[sgprAlpha], v[vgprValuC+33] // Multiply MI out reg with alpha
v_mul_f32 v[vgprValuC+210], s[sgprAlpha], v[vgprValuC+49] // Multiply MI out reg with alpha
v_mul_f32 v[vgprValuC+212], s[sgprAlpha], v[vgprValuC+34] // Multiply MI out reg with alpha
v_mul_f32 v[vgprValuC+214], s[sgprAlpha], v[vgprValuC+50] // Multiply MI out reg with alpha
v_mul_f32 v[vgprValuC+216], s[sgprAlpha], v[vgprValuC+35] // Multiply MI out reg with alpha
v_mul_f32 v[vgprValuC+218], s[sgprAlpha], v[vgprValuC+51] // Multiply MI out reg with alpha
v_mul_f32 v[vgprValuC+220], s[sgprAlpha], v[vgprValuC+36] // Multiply MI out reg with alpha
v_mul_f32 v[vgprValuC+222], s[sgprAlpha], v[vgprValuC+52] // Multiply MI out reg with alpha
v_mul_f32 v[vgprValuC+224], s[sgprAlpha], v[vgprValuC+37] // Multiply MI out reg with alpha
v_mul_f32 v[vgprValuC+226], s[sgprAlpha], v[vgprValuC+53] // Multiply MI out reg with alpha
v_mul_f32 v[vgprValuC+228], s[sgprAlpha], v[vgprValuC+38] // Multiply MI out reg with alpha
v_mul_f32 v[vgprValuC+230], s[sgprAlpha], v[vgprValuC+54] // Multiply MI out reg with alpha
v_mul_f32 v[vgprValuC+232], s[sgprAlpha], v[vgprValuC+39] // Multiply MI out reg with alpha
v_mul_f32 v[vgprValuC+234], s[sgprAlpha], v[vgprValuC+55] // Multiply MI out reg with alpha
v_mul_f32 v[vgprValuC+236], s[sgprAlpha], v[vgprValuC+40] // Multiply MI out reg with alpha
v_mul_f32 v[vgprValuC+238], s[sgprAlpha], v[vgprValuC+56] // Multiply MI out reg with alpha
v_mul_f32 v[vgprValuC+240], s[sgprAlpha], v[vgprValuC+41] // Multiply MI out reg with alpha
v_mul_f32 v[vgprValuC+242], s[sgprAlpha], v[vgprValuC+57] // Multiply MI out reg with alpha
v_mul_f32 v[vgprValuC+244], s[sgprAlpha], v[vgprValuC+42] // Multiply MI out reg with alpha
v_mul_f32 v[vgprValuC+246], s[sgprAlpha], v[vgprValuC+58] // Multiply MI out reg with alpha
v_mul_f32 v[vgprValuC+248], s[sgprAlpha], v[vgprValuC+43] // Multiply MI out reg with alpha
v_mul_f32 v[vgprValuC+250], s[sgprAlpha], v[vgprValuC+59] // Multiply MI out reg with alpha
v_mul_f32 v[vgprValuC+252], s[sgprAlpha], v[vgprValuC+44] // Multiply MI out reg with alpha
v_mul_f32 v[vgprValuC+254], s[sgprAlpha], v[vgprValuC+60] // Multiply MI out reg with alpha
/* (d1,vc1,d0,vc0)=(0,0,0,0) */
_v_add_lshl_u32 v135, v130, v128, 0x2              // optSingleColVgpr scaleToBpe: sharedAddrVgpr <- cinRowPtr + coord0, scaled by BPE. BSHERE:coord0=128, coord0Vgpr=128
_buffer_load_b32 v136, v135, s[sgprSrdC:sgprSrdC+3], 0, offen offset:0,  glc slc // load C for beta calc
/* (d1,vc1,d0,vc0)=(0,0,1,0) */
_buffer_load_b32 v138, v135, s[sgprSrdC:sgprSrdC+3], 0, offen offset:512,  glc slc // load C for beta calc
/* (d1,vc1,d0,vc0)=(0,1,0,0) */
s_lshl_b32  s32, s[sgprStrideC1J], 2               // incToNextRow: Scale by BPE
s_add_u32  s[sgprSrdC+0], s[sgprSrdC+0], s32       // incToNextRow: gra SRD += inc(lower)
s_addc_u32  s[sgprSrdC+1], s[sgprSrdC+1], 0        // incToNextRow: gra SRD += inc(upper)
_buffer_load_b32 v140, v135, s[sgprSrdC:sgprSrdC+3], 0, offen offset:0,  glc slc // load C for beta calc
/* (d1,vc1,d0,vc0)=(0,1,1,0) */
_buffer_load_b32 v142, v135, s[sgprSrdC:sgprSrdC+3], 0, offen offset:512,  glc slc // load C for beta calc
/* (d1,vc1,d0,vc0)=(0,2,0,0) */
s_lshl_b32  s32, s[sgprStrideC1J], 2               // incToNextRow: Scale by BPE
s_add_u32  s[sgprSrdC+0], s[sgprSrdC+0], s32       // incToNextRow: gra SRD += inc(lower)
s_addc_u32  s[sgprSrdC+1], s[sgprSrdC+1], 0        // incToNextRow: gra SRD += inc(upper)
_buffer_load_b32 v144, v135, s[sgprSrdC:sgprSrdC+3], 0, offen offset:0,  glc slc // load C for beta calc
/* (d1,vc1,d0,vc0)=(0,2,1,0) */
_buffer_load_b32 v146, v135, s[sgprSrdC:sgprSrdC+3], 0, offen offset:512,  glc slc // load C for beta calc
/* (d1,vc1,d0,vc0)=(0,3,0,0) */
s_lshl_b32  s32, s[sgprStrideC1J], 2               // incToNextRow: Scale by BPE
s_add_u32  s[sgprSrdC+0], s[sgprSrdC+0], s32       // incToNextRow: gra SRD += inc(lower)
s_addc_u32  s[sgprSrdC+1], s[sgprSrdC+1], 0        // incToNextRow: gra SRD += inc(upper)
_buffer_load_b32 v148, v135, s[sgprSrdC:sgprSrdC+3], 0, offen offset:0,  glc slc // load C for beta calc
/* (d1,vc1,d0,vc0)=(0,3,1,0) */
_buffer_load_b32 v150, v135, s[sgprSrdC:sgprSrdC+3], 0, offen offset:512,  glc slc // load C for beta calc
/* (d1,vc1,d0,vc0)=(1,0,0,0) */
s_mul_i32 s32, s[sgprStrideC1J], 20                // scale StrideC *= numRows(5) * bpe
s_add_u32  s[sgprSrdC+0], s[sgprSrdC+0], s32       // incToNextRow: gra SRD += inc(lower)
s_addc_u32  s[sgprSrdC+1], s[sgprSrdC+1], 0        // incToNextRow: gra SRD += inc(upper)
_buffer_load_b32 v152, v135, s[sgprSrdC:sgprSrdC+3], 0, offen offset:0,  glc slc // load C for beta calc
/* (d1,vc1,d0,vc0)=(1,0,1,0) */
_buffer_load_b32 v154, v135, s[sgprSrdC:sgprSrdC+3], 0, offen offset:512,  glc slc // load C for beta calc
/* (d1,vc1,d0,vc0)=(1,1,0,0) */
s_lshl_b32  s32, s[sgprStrideC1J], 2               // incToNextRow: Scale by BPE
s_add_u32  s[sgprSrdC+0], s[sgprSrdC+0], s32       // incToNextRow: gra SRD += inc(lower)
s_addc_u32  s[sgprSrdC+1], s[sgprSrdC+1], 0        // incToNextRow: gra SRD += inc(upper)
_buffer_load_b32 v156, v135, s[sgprSrdC:sgprSrdC+3], 0, offen offset:0,  glc slc // load C for beta calc
/* (d1,vc1,d0,vc0)=(1,1,1,0) */
_buffer_load_b32 v158, v135, s[sgprSrdC:sgprSrdC+3], 0, offen offset:512,  glc slc // load C for beta calc
/* (d1,vc1,d0,vc0)=(1,2,0,0) */
s_lshl_b32  s32, s[sgprStrideC1J], 2               // incToNextRow: Scale by BPE
s_add_u32  s[sgprSrdC+0], s[sgprSrdC+0], s32       // incToNextRow: gra SRD += inc(lower)
s_addc_u32  s[sgprSrdC+1], s[sgprSrdC+1], 0        // incToNextRow: gra SRD += inc(upper)
_buffer_load_b32 v160, v135, s[sgprSrdC:sgprSrdC+3], 0, offen offset:0,  glc slc // load C for beta calc
/* (d1,vc1,d0,vc0)=(1,2,1,0) */
_buffer_load_b32 v162, v135, s[sgprSrdC:sgprSrdC+3], 0, offen offset:512,  glc slc // load C for beta calc
/* (d1,vc1,d0,vc0)=(1,3,0,0) */
s_lshl_b32  s32, s[sgprStrideC1J], 2               // incToNextRow: Scale by BPE
s_add_u32  s[sgprSrdC+0], s[sgprSrdC+0], s32       // incToNextRow: gra SRD += inc(lower)
s_addc_u32  s[sgprSrdC+1], s[sgprSrdC+1], 0        // incToNextRow: gra SRD += inc(upper)
_buffer_load_b32 v164, v135, s[sgprSrdC:sgprSrdC+3], 0, offen offset:0,  glc slc // load C for beta calc
/* (d1,vc1,d0,vc0)=(1,3,1,0) */
_buffer_load_b32 v166, v135, s[sgprSrdC:sgprSrdC+3], 0, offen offset:512,  glc slc // load C for beta calc
/* (d1,vc1,d0,vc0)=(2,0,0,0) */
s_mul_i32 s32, s[sgprStrideC1J], 20                // scale StrideC *= numRows(5) * bpe
s_add_u32  s[sgprSrdC+0], s[sgprSrdC+0], s32       // incToNextRow: gra SRD += inc(lower)
s_addc_u32  s[sgprSrdC+1], s[sgprSrdC+1], 0        // incToNextRow: gra SRD += inc(upper)
_buffer_load_b32 v168, v135, s[sgprSrdC:sgprSrdC+3], 0, offen offset:0,  glc slc // load C for beta calc
/* (d1,vc1,d0,vc0)=(2,0,1,0) */
_buffer_load_b32 v173, v135, s[sgprSrdC:sgprSrdC+3], 0, offen offset:512,  glc slc // load C for beta calc
/* (d1,vc1,d0,vc0)=(2,1,0,0) */
s_lshl_b32  s32, s[sgprStrideC1J], 2               // incToNextRow: Scale by BPE
s_add_u32  s[sgprSrdC+0], s[sgprSrdC+0], s32       // incToNextRow: gra SRD += inc(lower)
s_addc_u32  s[sgprSrdC+1], s[sgprSrdC+1], 0        // incToNextRow: gra SRD += inc(upper)
_buffer_load_b32 v175, v135, s[sgprSrdC:sgprSrdC+3], 0, offen offset:0,  glc slc // load C for beta calc
/* (d1,vc1,d0,vc0)=(2,1,1,0) */
_buffer_load_b32 v177, v135, s[sgprSrdC:sgprSrdC+3], 0, offen offset:512,  glc slc // load C for beta calc
/* (d1,vc1,d0,vc0)=(2,2,0,0) */
s_lshl_b32  s32, s[sgprStrideC1J], 2               // incToNextRow: Scale by BPE
s_add_u32  s[sgprSrdC+0], s[sgprSrdC+0], s32       // incToNextRow: gra SRD += inc(lower)
s_addc_u32  s[sgprSrdC+1], s[sgprSrdC+1], 0        // incToNextRow: gra SRD += inc(upper)
_buffer_load_b32 v179, v135, s[sgprSrdC:sgprSrdC+3], 0, offen offset:0,  glc slc // load C for beta calc
/* (d1,vc1,d0,vc0)=(2,2,1,0) */
_buffer_load_b32 v181, v135, s[sgprSrdC:sgprSrdC+3], 0, offen offset:512,  glc slc // load C for beta calc
/* (d1,vc1,d0,vc0)=(2,3,0,0) */
s_lshl_b32  s32, s[sgprStrideC1J], 2               // incToNextRow: Scale by BPE
s_add_u32  s[sgprSrdC+0], s[sgprSrdC+0], s32       // incToNextRow: gra SRD += inc(lower)
s_addc_u32  s[sgprSrdC+1], s[sgprSrdC+1], 0        // incToNextRow: gra SRD += inc(upper)
_buffer_load_b32 v183, v135, s[sgprSrdC:sgprSrdC+3], 0, offen offset:0,  glc slc // load C for beta calc
/* (d1,vc1,d0,vc0)=(2,3,1,0) */
_buffer_load_b32 v185, v135, s[sgprSrdC:sgprSrdC+3], 0, offen offset:512,  glc slc // load C for beta calc
/* (d1,vc1,d0,vc0)=(3,0,0,0) */
s_mul_i32 s32, s[sgprStrideC1J], 20                // scale StrideC *= numRows(5) * bpe
s_add_u32  s[sgprSrdC+0], s[sgprSrdC+0], s32       // incToNextRow: gra SRD += inc(lower)
s_addc_u32  s[sgprSrdC+1], s[sgprSrdC+1], 0        // incToNextRow: gra SRD += inc(upper)
_buffer_load_b32 v187, v135, s[sgprSrdC:sgprSrdC+3], 0, offen offset:0,  glc slc // load C for beta calc
/* (d1,vc1,d0,vc0)=(3,0,1,0) */
_buffer_load_b32 v189, v135, s[sgprSrdC:sgprSrdC+3], 0, offen offset:512,  glc slc // load C for beta calc
/* (d1,vc1,d0,vc0)=(3,1,0,0) */
s_lshl_b32  s32, s[sgprStrideC1J], 2               // incToNextRow: Scale by BPE
s_add_u32  s[sgprSrdC+0], s[sgprSrdC+0], s32       // incToNextRow: gra SRD += inc(lower)
s_addc_u32  s[sgprSrdC+1], s[sgprSrdC+1], 0        // incToNextRow: gra SRD += inc(upper)
_buffer_load_b32 v191, v135, s[sgprSrdC:sgprSrdC+3], 0, offen offset:0,  glc slc // load C for beta calc
/* (d1,vc1,d0,vc0)=(3,1,1,0) */
_buffer_load_b32 v193, v135, s[sgprSrdC:sgprSrdC+3], 0, offen offset:512,  glc slc // load C for beta calc
/* (d1,vc1,d0,vc0)=(3,2,0,0) */
s_lshl_b32  s32, s[sgprStrideC1J], 2               // incToNextRow: Scale by BPE
s_add_u32  s[sgprSrdC+0], s[sgprSrdC+0], s32       // incToNextRow: gra SRD += inc(lower)
s_addc_u32  s[sgprSrdC+1], s[sgprSrdC+1], 0        // incToNextRow: gra SRD += inc(upper)
_buffer_load_b32 v195, v135, s[sgprSrdC:sgprSrdC+3], 0, offen offset:0,  glc slc // load C for beta calc
/* (d1,vc1,d0,vc0)=(3,2,1,0) */
_buffer_load_b32 v197, v135, s[sgprSrdC:sgprSrdC+3], 0, offen offset:512,  glc slc // load C for beta calc
/* (d1,vc1,d0,vc0)=(3,3,0,0) */
s_lshl_b32  s32, s[sgprStrideC1J], 2               // incToNextRow: Scale by BPE
s_add_u32  s[sgprSrdC+0], s[sgprSrdC+0], s32       // incToNextRow: gra SRD += inc(lower)
s_addc_u32  s[sgprSrdC+1], s[sgprSrdC+1], 0        // incToNextRow: gra SRD += inc(upper)
_buffer_load_b32 v199, v135, s[sgprSrdC:sgprSrdC+3], 0, offen offset:0,  glc slc // load C for beta calc
/* (d1,vc1,d0,vc0)=(3,3,1,0) */
_buffer_load_b32 v201, v135, s[sgprSrdC:sgprSrdC+3], 0, offen offset:512,  glc slc // load C for beta calc
/* (d1,vc1,d0,vc0)=(4,0,0,0) */
s_mul_i32 s32, s[sgprStrideC1J], 20                // scale StrideC *= numRows(5) * bpe
s_add_u32  s[sgprSrdC+0], s[sgprSrdC+0], s32       // incToNextRow: gra SRD += inc(lower)
s_addc_u32  s[sgprSrdC+1], s[sgprSrdC+1], 0        // incToNextRow: gra SRD += inc(upper)
_buffer_load_b32 v203, v135, s[sgprSrdC:sgprSrdC+3], 0, offen offset:0,  glc slc // load C for beta calc
/* (d1,vc1,d0,vc0)=(4,0,1,0) */
_buffer_load_b32 v205, v135, s[sgprSrdC:sgprSrdC+3], 0, offen offset:512,  glc slc // load C for beta calc
/* (d1,vc1,d0,vc0)=(4,1,0,0) */
s_lshl_b32  s32, s[sgprStrideC1J], 2               // incToNextRow: Scale by BPE
s_add_u32  s[sgprSrdC+0], s[sgprSrdC+0], s32       // incToNextRow: gra SRD += inc(lower)
s_addc_u32  s[sgprSrdC+1], s[sgprSrdC+1], 0        // incToNextRow: gra SRD += inc(upper)
_buffer_load_b32 v207, v135, s[sgprSrdC:sgprSrdC+3], 0, offen offset:0,  glc slc // load C for beta calc
/* (d1,vc1,d0,vc0)=(4,1,1,0) */
_buffer_load_b32 v209, v135, s[sgprSrdC:sgprSrdC+3], 0, offen offset:512,  glc slc // load C for beta calc
/* (d1,vc1,d0,vc0)=(4,2,0,0) */
s_lshl_b32  s32, s[sgprStrideC1J], 2               // incToNextRow: Scale by BPE
s_add_u32  s[sgprSrdC+0], s[sgprSrdC+0], s32       // incToNextRow: gra SRD += inc(lower)
s_addc_u32  s[sgprSrdC+1], s[sgprSrdC+1], 0        // incToNextRow: gra SRD += inc(upper)
_buffer_load_b32 v211, v135, s[sgprSrdC:sgprSrdC+3], 0, offen offset:0,  glc slc // load C for beta calc
/* (d1,vc1,d0,vc0)=(4,2,1,0) */
_buffer_load_b32 v213, v135, s[sgprSrdC:sgprSrdC+3], 0, offen offset:512,  glc slc // load C for beta calc
/* (d1,vc1,d0,vc0)=(4,3,0,0) */
s_lshl_b32  s32, s[sgprStrideC1J], 2               // incToNextRow: Scale by BPE
s_add_u32  s[sgprSrdC+0], s[sgprSrdC+0], s32       // incToNextRow: gra SRD += inc(lower)
s_addc_u32  s[sgprSrdC+1], s[sgprSrdC+1], 0        // incToNextRow: gra SRD += inc(upper)
_buffer_load_b32 v215, v135, s[sgprSrdC:sgprSrdC+3], 0, offen offset:0,  glc slc // load C for beta calc
/* (d1,vc1,d0,vc0)=(4,3,1,0) */
_buffer_load_b32 v217, v135, s[sgprSrdC:sgprSrdC+3], 0, offen offset:512,  glc slc // load C for beta calc
/* (d1,vc1,d0,vc0)=(5,0,0,0) */
s_mul_i32 s32, s[sgprStrideC1J], 20                // scale StrideC *= numRows(5) * bpe
s_add_u32  s[sgprSrdC+0], s[sgprSrdC+0], s32       // incToNextRow: gra SRD += inc(lower)
s_addc_u32  s[sgprSrdC+1], s[sgprSrdC+1], 0        // incToNextRow: gra SRD += inc(upper)
_buffer_load_b32 v219, v135, s[sgprSrdC:sgprSrdC+3], 0, offen offset:0,  glc slc // load C for beta calc
/* (d1,vc1,d0,vc0)=(5,0,1,0) */
_buffer_load_b32 v221, v135, s[sgprSrdC:sgprSrdC+3], 0, offen offset:512,  glc slc // load C for beta calc
/* (d1,vc1,d0,vc0)=(5,1,0,0) */
s_lshl_b32  s32, s[sgprStrideC1J], 2               // incToNextRow: Scale by BPE
s_add_u32  s[sgprSrdC+0], s[sgprSrdC+0], s32       // incToNextRow: gra SRD += inc(lower)
s_addc_u32  s[sgprSrdC+1], s[sgprSrdC+1], 0        // incToNextRow: gra SRD += inc(upper)
_buffer_load_b32 v223, v135, s[sgprSrdC:sgprSrdC+3], 0, offen offset:0,  glc slc // load C for beta calc
/* (d1,vc1,d0,vc0)=(5,1,1,0) */
_buffer_load_b32 v225, v135, s[sgprSrdC:sgprSrdC+3], 0, offen offset:512,  glc slc // load C for beta calc
/* (d1,vc1,d0,vc0)=(5,2,0,0) */
s_lshl_b32  s32, s[sgprStrideC1J], 2               // incToNextRow: Scale by BPE
s_add_u32  s[sgprSrdC+0], s[sgprSrdC+0], s32       // incToNextRow: gra SRD += inc(lower)
s_addc_u32  s[sgprSrdC+1], s[sgprSrdC+1], 0        // incToNextRow: gra SRD += inc(upper)
_buffer_load_b32 v227, v135, s[sgprSrdC:sgprSrdC+3], 0, offen offset:0,  glc slc // load C for beta calc
/* (d1,vc1,d0,vc0)=(5,2,1,0) */
_buffer_load_b32 v229, v135, s[sgprSrdC:sgprSrdC+3], 0, offen offset:512,  glc slc // load C for beta calc
/* (d1,vc1,d0,vc0)=(5,3,0,0) */
s_lshl_b32  s32, s[sgprStrideC1J], 2               // incToNextRow: Scale by BPE
s_add_u32  s[sgprSrdC+0], s[sgprSrdC+0], s32       // incToNextRow: gra SRD += inc(lower)
s_addc_u32  s[sgprSrdC+1], s[sgprSrdC+1], 0        // incToNextRow: gra SRD += inc(upper)
_buffer_load_b32 v231, v135, s[sgprSrdC:sgprSrdC+3], 0, offen offset:0,  glc slc // load C for beta calc
/* (d1,vc1,d0,vc0)=(5,3,1,0) */
_buffer_load_b32 v233, v135, s[sgprSrdC:sgprSrdC+3], 0, offen offset:512,  glc slc // load C for beta calc
/* (d1,vc1,d0,vc0)=(6,0,0,0) */
s_mul_i32 s32, s[sgprStrideC1J], 20                // scale StrideC *= numRows(5) * bpe
s_add_u32  s[sgprSrdC+0], s[sgprSrdC+0], s32       // incToNextRow: gra SRD += inc(lower)
s_addc_u32  s[sgprSrdC+1], s[sgprSrdC+1], 0        // incToNextRow: gra SRD += inc(upper)
_buffer_load_b32 v235, v135, s[sgprSrdC:sgprSrdC+3], 0, offen offset:0,  glc slc // load C for beta calc
/* (d1,vc1,d0,vc0)=(6,0,1,0) */
_buffer_load_b32 v237, v135, s[sgprSrdC:sgprSrdC+3], 0, offen offset:512,  glc slc // load C for beta calc
/* (d1,vc1,d0,vc0)=(6,1,0,0) */
s_lshl_b32  s32, s[sgprStrideC1J], 2               // incToNextRow: Scale by BPE
s_add_u32  s[sgprSrdC+0], s[sgprSrdC+0], s32       // incToNextRow: gra SRD += inc(lower)
s_addc_u32  s[sgprSrdC+1], s[sgprSrdC+1], 0        // incToNextRow: gra SRD += inc(upper)
_buffer_load_b32 v239, v135, s[sgprSrdC:sgprSrdC+3], 0, offen offset:0,  glc slc // load C for beta calc
/* (d1,vc1,d0,vc0)=(6,1,1,0) */
_buffer_load_b32 v241, v135, s[sgprSrdC:sgprSrdC+3], 0, offen offset:512,  glc slc // load C for beta calc
/* (d1,vc1,d0,vc0)=(6,2,0,0) */
s_lshl_b32  s32, s[sgprStrideC1J], 2               // incToNextRow: Scale by BPE
s_add_u32  s[sgprSrdC+0], s[sgprSrdC+0], s32       // incToNextRow: gra SRD += inc(lower)
s_addc_u32  s[sgprSrdC+1], s[sgprSrdC+1], 0        // incToNextRow: gra SRD += inc(upper)
_buffer_load_b32 v243, v135, s[sgprSrdC:sgprSrdC+3], 0, offen offset:0,  glc slc // load C for beta calc
/* (d1,vc1,d0,vc0)=(6,2,1,0) */
_buffer_load_b32 v245, v135, s[sgprSrdC:sgprSrdC+3], 0, offen offset:512,  glc slc // load C for beta calc
/* (d1,vc1,d0,vc0)=(6,3,0,0) */
s_lshl_b32  s32, s[sgprStrideC1J], 2               // incToNextRow: Scale by BPE
s_add_u32  s[sgprSrdC+0], s[sgprSrdC+0], s32       // incToNextRow: gra SRD += inc(lower)
s_addc_u32  s[sgprSrdC+1], s[sgprSrdC+1], 0        // incToNextRow: gra SRD += inc(upper)
_buffer_load_b32 v247, v135, s[sgprSrdC:sgprSrdC+3], 0, offen offset:0,  glc slc // load C for beta calc
/* (d1,vc1,d0,vc0)=(6,3,1,0) */
_buffer_load_b32 v249, v135, s[sgprSrdC:sgprSrdC+3], 0, offen offset:512,  glc slc // load C for beta calc
/* (d1,vc1,d0,vc0)=(7,0,0,0) */
s_mul_i32 s32, s[sgprStrideC1J], 20                // scale StrideC *= numRows(5) * bpe
s_add_u32  s[sgprSrdC+0], s[sgprSrdC+0], s32       // incToNextRow: gra SRD += inc(lower)
s_addc_u32  s[sgprSrdC+1], s[sgprSrdC+1], 0        // incToNextRow: gra SRD += inc(upper)
_buffer_load_b32 v251, v135, s[sgprSrdC:sgprSrdC+3], 0, offen offset:0,  glc slc // load C for beta calc
/* (d1,vc1,d0,vc0)=(7,0,1,0) */
_buffer_load_b32 v253, v135, s[sgprSrdC:sgprSrdC+3], 0, offen offset:512,  glc slc // load C for beta calc
_v_add_lshl_u32 v134, v131, v128, 0x2              // optSingleColVgpr scaleToBpe: sharedAddrVgpr <- cinRowPtr + coord0, scaled by BPE. BSHERE:coord0=128, coord0Vgpr=128
s_sleep 1 // optimization: sync and wait
s_barrier

/* apply mask, calc new C and issue writes */

s_waitcnt vmcnt(57)                                // wait C (interleaved) 57 = 58 - 0 + 0 - 1
_v_mac_f32 v[vgprValuC+137], v136, s[sgprBeta]     // finalSum = sum*alpha + C*beta
_buffer_store_b32 v137, v134, s[sgprSrdD:sgprSrdD+3], 0, offen, offset:0,  glc slc // store D

s_waitcnt vmcnt(57)                                // wait C (interleaved) 57 = 58 - 1 + 1 - 1
_v_mac_f32 v[vgprValuC+139], v138, s[sgprBeta]     // finalSum = sum*alpha + C*beta
_buffer_store_b32 v139, v134, s[sgprSrdD:sgprSrdD+3], 0, offen, offset:512,  glc slc // store D

s_waitcnt vmcnt(57)                                // wait C (interleaved) 57 = 58 - 2 + 2 - 1
_v_mac_f32 v[vgprValuC+141], v140, s[sgprBeta]     // finalSum = sum*alpha + C*beta
s_lshl_b32  s32, s[sgprStrideD1J], 2               // incToNextRow: Scale by BPE
s_add_u32  s[sgprSrdD+0], s[sgprSrdD+0], s32       // incToNextRow: gra SRD += inc(lower)
s_addc_u32  s[sgprSrdD+1], s[sgprSrdD+1], 0        // incToNextRow: gra SRD += inc(upper)
_buffer_store_b32 v141, v134, s[sgprSrdD:sgprSrdD+3], 0, offen, offset:0,  glc slc // store D

s_waitcnt vmcnt(57)                                // wait C (interleaved) 57 = 58 - 3 + 3 - 1
_v_mac_f32 v[vgprValuC+143], v142, s[sgprBeta]     // finalSum = sum*alpha + C*beta
_buffer_store_b32 v143, v134, s[sgprSrdD:sgprSrdD+3], 0, offen, offset:512,  glc slc // store D

s_waitcnt vmcnt(57)                                // wait C (interleaved) 57 = 58 - 4 + 4 - 1
_v_mac_f32 v[vgprValuC+145], v144, s[sgprBeta]     // finalSum = sum*alpha + C*beta
s_lshl_b32  s32, s[sgprStrideD1J], 2               // incToNextRow: Scale by BPE
s_add_u32  s[sgprSrdD+0], s[sgprSrdD+0], s32       // incToNextRow: gra SRD += inc(lower)
s_addc_u32  s[sgprSrdD+1], s[sgprSrdD+1], 0        // incToNextRow: gra SRD += inc(upper)
_buffer_store_b32 v145, v134, s[sgprSrdD:sgprSrdD+3], 0, offen, offset:0,  glc slc // store D

s_waitcnt vmcnt(57)                                // wait C (interleaved) 57 = 58 - 5 + 5 - 1
_v_mac_f32 v[vgprValuC+147], v146, s[sgprBeta]     // finalSum = sum*alpha + C*beta
_buffer_store_b32 v147, v134, s[sgprSrdD:sgprSrdD+3], 0, offen, offset:512,  glc slc // store D

s_waitcnt vmcnt(57)                                // wait C (interleaved) 57 = 58 - 6 + 6 - 1
_v_mac_f32 v[vgprValuC+149], v148, s[sgprBeta]     // finalSum = sum*alpha + C*beta
s_lshl_b32  s32, s[sgprStrideD1J], 2               // incToNextRow: Scale by BPE
s_add_u32  s[sgprSrdD+0], s[sgprSrdD+0], s32       // incToNextRow: gra SRD += inc(lower)
s_addc_u32  s[sgprSrdD+1], s[sgprSrdD+1], 0        // incToNextRow: gra SRD += inc(upper)
_buffer_store_b32 v149, v134, s[sgprSrdD:sgprSrdD+3], 0, offen, offset:0,  glc slc // store D

s_waitcnt vmcnt(57)                                // wait C (interleaved) 57 = 58 - 7 + 7 - 1
_v_mac_f32 v[vgprValuC+151], v150, s[sgprBeta]     // finalSum = sum*alpha + C*beta
_buffer_store_b32 v151, v134, s[sgprSrdD:sgprSrdD+3], 0, offen, offset:512,  glc slc // store D

s_waitcnt vmcnt(57)                                // wait C (interleaved) 57 = 58 - 8 + 8 - 1
_v_mac_f32 v[vgprValuC+153], v152, s[sgprBeta]     // finalSum = sum*alpha + C*beta
s_mul_i32 s32, s[sgprStrideD1J], 20                // scale StrideD *= numRows(5) * bpe
s_add_u32  s[sgprSrdD+0], s[sgprSrdD+0], s32       // incToNextRow: gra SRD += inc(lower)
s_addc_u32  s[sgprSrdD+1], s[sgprSrdD+1], 0        // incToNextRow: gra SRD += inc(upper)
_buffer_store_b32 v153, v134, s[sgprSrdD:sgprSrdD+3], 0, offen, offset:0,  glc slc // store D

s_waitcnt vmcnt(57)                                // wait C (interleaved) 57 = 58 - 9 + 9 - 1
_v_mac_f32 v[vgprValuC+155], v154, s[sgprBeta]     // finalSum = sum*alpha + C*beta
_buffer_store_b32 v155, v134, s[sgprSrdD:sgprSrdD+3], 0, offen, offset:512,  glc slc // store D

s_waitcnt vmcnt(57)                                // wait C (interleaved) 57 = 58 - 10 + 10 - 1
_v_mac_f32 v[vgprValuC+157], v156, s[sgprBeta]     // finalSum = sum*alpha + C*beta
s_lshl_b32  s32, s[sgprStrideD1J], 2               // incToNextRow: Scale by BPE
s_add_u32  s[sgprSrdD+0], s[sgprSrdD+0], s32       // incToNextRow: gra SRD += inc(lower)
s_addc_u32  s[sgprSrdD+1], s[sgprSrdD+1], 0        // incToNextRow: gra SRD += inc(upper)
_buffer_store_b32 v157, v134, s[sgprSrdD:sgprSrdD+3], 0, offen, offset:0,  glc slc // store D

s_waitcnt vmcnt(57)                                // wait C (interleaved) 57 = 58 - 11 + 11 - 1
_v_mac_f32 v[vgprValuC+159], v158, s[sgprBeta]     // finalSum = sum*alpha + C*beta
_buffer_store_b32 v159, v134, s[sgprSrdD:sgprSrdD+3], 0, offen, offset:512,  glc slc // store D

s_waitcnt vmcnt(57)                                // wait C (interleaved) 57 = 58 - 12 + 12 - 1
_v_mac_f32 v[vgprValuC+161], v160, s[sgprBeta]     // finalSum = sum*alpha + C*beta
s_lshl_b32  s32, s[sgprStrideD1J], 2               // incToNextRow: Scale by BPE
s_add_u32  s[sgprSrdD+0], s[sgprSrdD+0], s32       // incToNextRow: gra SRD += inc(lower)
s_addc_u32  s[sgprSrdD+1], s[sgprSrdD+1], 0        // incToNextRow: gra SRD += inc(upper)
_buffer_store_b32 v161, v134, s[sgprSrdD:sgprSrdD+3], 0, offen, offset:0,  glc slc // store D

s_waitcnt vmcnt(57)                                // wait C (interleaved) 57 = 58 - 13 + 13 - 1
_v_mac_f32 v[vgprValuC+163], v162, s[sgprBeta]     // finalSum = sum*alpha + C*beta
_buffer_store_b32 v163, v134, s[sgprSrdD:sgprSrdD+3], 0, offen, offset:512,  glc slc // store D

s_waitcnt vmcnt(57)                                // wait C (interleaved) 57 = 58 - 14 + 14 - 1
_v_mac_f32 v[vgprValuC+165], v164, s[sgprBeta]     // finalSum = sum*alpha + C*beta
s_lshl_b32  s32, s[sgprStrideD1J], 2               // incToNextRow: Scale by BPE
s_add_u32  s[sgprSrdD+0], s[sgprSrdD+0], s32       // incToNextRow: gra SRD += inc(lower)
s_addc_u32  s[sgprSrdD+1], s[sgprSrdD+1], 0        // incToNextRow: gra SRD += inc(upper)
_buffer_store_b32 v165, v134, s[sgprSrdD:sgprSrdD+3], 0, offen, offset:0,  glc slc // store D

s_waitcnt vmcnt(57)                                // wait C (interleaved) 57 = 58 - 15 + 15 - 1
_v_mac_f32 v[vgprValuC+167], v166, s[sgprBeta]     // finalSum = sum*alpha + C*beta
_buffer_store_b32 v167, v134, s[sgprSrdD:sgprSrdD+3], 0, offen, offset:512,  glc slc // store D

s_waitcnt vmcnt(57)                                // wait C (interleaved) 57 = 58 - 16 + 16 - 1
_v_mac_f32 v[vgprValuC+169], v168, s[sgprBeta]     // finalSum = sum*alpha + C*beta
s_mul_i32 s32, s[sgprStrideD1J], 20                // scale StrideD *= numRows(5) * bpe
s_add_u32  s[sgprSrdD+0], s[sgprSrdD+0], s32       // incToNextRow: gra SRD += inc(lower)
s_addc_u32  s[sgprSrdD+1], s[sgprSrdD+1], 0        // incToNextRow: gra SRD += inc(upper)
	;; [unrolled: 44-line block ×7, first 2 shown]
_buffer_store_b32 v252, v134, s[sgprSrdD:sgprSrdD+3], 0, offen, offset:0,  glc slc // store D

s_waitcnt vmcnt(57)                                // wait C (interleaved) 57 = 58 - 57 + 57 - 1
_v_mac_f32 v[vgprValuC+254], v253, s[sgprBeta]     // finalSum = sum*alpha + C*beta
_buffer_store_b32 v254, v134, s[sgprSrdD:sgprSrdD+3], 0, offen, offset:512,  glc slc // store D
s_nop 0                                            // 1 wait state required when next inst writes vgprs held by previous dwordx4 store inst
/* optSingleColVgpr=1 optSharedColVgpr=0 optSGPRUsage=BufferLoad_Mask optSrdIncForRow=1 */
s_sleep 1 // optimization: sync and wait
s_barrier

/******************************************/
/* Global Write Alpha Beta Batch #1 (d1,d0,vc1,vc0) = */
/*    (7,0,1,0:vw1); (7,1,1,0:vw1); (7,0,2,0:vw1); (7,1,2,0:vw1); (7,0,3,0:vw1); (7,1,3,0:vw1); (8,0,0,0:vw1); (8,1,0,0:vw1); (8,0,1,0:vw1); (8,1,1,0:vw1); (8,0,2,0:vw1); (8,1,2,0:vw1); (8,0,3,0:vw1); (8,1,3,0:vw1); (9,0,0,0:vw1); (9,1,0,0:vw1); (9,0,1,0:vw1); (9,1,1,0:vw1); (9,0,2,0:vw1); (9,1,2,0:vw1); (9,0,3,0:vw1); (9,1,3,0:vw1); (10,0,0,0:vw1); (10,1,0,0:vw1); (10,0,1,0:vw1); (10,1,1,0:vw1); (10,0,2,0:vw1); (10,1,2,0:vw1); (10,0,3,0:vw1); (10,1,3,0:vw1); (11,0,0,0:vw1); (11,1,0,0:vw1); (11,0,1,0:vw1); (11,1,1,0:vw1); (11,0,2,0:vw1); (11,1,2,0:vw1); (11,0,3,0:vw1); (11,1,3,0:vw1); (12,0,0,0:vw1); (12,1,0,0:vw1); (12,0,1,0:vw1); (12,1,1,0:vw1); (12,0,2,0:vw1); (12,1,2,0:vw1); (12,0,3,0:vw1); (12,1,3,0:vw1); (13,0,0,0:vw1); (13,1,0,0:vw1); (13,0,1,0:vw1); (13,1,1,0:vw1); (13,0,2,0:vw1); (13,1,2,0:vw1); (13,0,3,0:vw1); (13,1,3,0:vw1); (14,0,0,0:vw1); (14,1,0,0:vw1); (14,0,1,0:vw1); (14,1,1,0:vw1) */
/******************************************/

/* calc coords, apply mask, and issue loads (if necessary) */

/* rC *= alpha batchElements=[(7, 0, 1, 0), (7, 1, 1, 0), (7, 0, 2, 0), (7, 1, 2, 0), (7, 0, 3, 0), (7, 1, 3, 0), (8, 0, 0, 0), (8, 1, 0, 0), (8, 0, 1, 0), (8, 1, 1, 0), (8, 0, 2, 0), (8, 1, 2, 0), (8, 0, 3, 0), (8, 1, 3, 0), (9, 0, 0, 0), (9, 1, 0, 0), (9, 0, 1, 0), (9, 1, 1, 0), (9, 0, 2, 0), (9, 1, 2, 0), (9, 0, 3, 0), (9, 1, 3, 0), (10, 0, 0, 0), (10, 1, 0, 0), (10, 0, 1, 0), (10, 1, 1, 0), (10, 0, 2, 0), (10, 1, 2, 0), (10, 0, 3, 0), (10, 1, 3, 0), (11, 0, 0, 0), (11, 1, 0, 0), (11, 0, 1, 0), (11, 1, 1, 0), (11, 0, 2, 0), (11, 1, 2, 0), (11, 0, 3, 0), (11, 1, 3, 0), (12, 0, 0, 0), (12, 1, 0, 0), (12, 0, 1, 0), (12, 1, 1, 0), (12, 0, 2, 0), (12, 1, 2, 0), (12, 0, 3, 0), (12, 1, 3, 0), (13, 0, 0, 0), (13, 1, 0, 0), (13, 0, 1, 0), (13, 1, 1, 0), (13, 0, 2, 0), (13, 1, 2, 0), (13, 0, 3, 0), (13, 1, 3, 0), (14, 0, 0, 0), (14, 1, 0, 0), (14, 0, 1, 0), (14, 1, 1, 0)] */
v_mul_f32 v[vgprValuC+137], s[sgprAlpha], v[vgprValuC+45] // Multiply MI out reg with alpha
v_mul_f32 v[vgprValuC+139], s[sgprAlpha], v[vgprValuC+61] // Multiply MI out reg with alpha
	;; [unrolled: 1-line block ×58, first 2 shown]
/* (d1,vc1,d0,vc0)=(7,1,0,0) */
s_lshl_b32  s32, s[sgprStrideC1J], 2               // incToNextRow: Scale by BPE
s_add_u32  s[sgprSrdC+0], s[sgprSrdC+0], s32       // incToNextRow: gra SRD += inc(lower)
s_addc_u32  s[sgprSrdC+1], s[sgprSrdC+1], 0        // incToNextRow: gra SRD += inc(upper)
_buffer_load_b32 v136, v135, s[sgprSrdC:sgprSrdC+3], 0, offen offset:0,  glc slc // load C for beta calc
/* (d1,vc1,d0,vc0)=(7,1,1,0) */
_buffer_load_b32 v138, v135, s[sgprSrdC:sgprSrdC+3], 0, offen offset:512,  glc slc // load C for beta calc
/* (d1,vc1,d0,vc0)=(7,2,0,0) */
s_lshl_b32  s32, s[sgprStrideC1J], 2               // incToNextRow: Scale by BPE
s_add_u32  s[sgprSrdC+0], s[sgprSrdC+0], s32       // incToNextRow: gra SRD += inc(lower)
s_addc_u32  s[sgprSrdC+1], s[sgprSrdC+1], 0        // incToNextRow: gra SRD += inc(upper)
_buffer_load_b32 v140, v135, s[sgprSrdC:sgprSrdC+3], 0, offen offset:0,  glc slc // load C for beta calc
/* (d1,vc1,d0,vc0)=(7,2,1,0) */
_buffer_load_b32 v142, v135, s[sgprSrdC:sgprSrdC+3], 0, offen offset:512,  glc slc // load C for beta calc
/* (d1,vc1,d0,vc0)=(7,3,0,0) */
s_lshl_b32  s32, s[sgprStrideC1J], 2               // incToNextRow: Scale by BPE
s_add_u32  s[sgprSrdC+0], s[sgprSrdC+0], s32       // incToNextRow: gra SRD += inc(lower)
s_addc_u32  s[sgprSrdC+1], s[sgprSrdC+1], 0        // incToNextRow: gra SRD += inc(upper)
_buffer_load_b32 v144, v135, s[sgprSrdC:sgprSrdC+3], 0, offen offset:0,  glc slc // load C for beta calc
/* (d1,vc1,d0,vc0)=(7,3,1,0) */
_buffer_load_b32 v146, v135, s[sgprSrdC:sgprSrdC+3], 0, offen offset:512,  glc slc // load C for beta calc
/* (d1,vc1,d0,vc0)=(8,0,0,0) */
s_mul_i32 s32, s[sgprStrideC1J], 20                // scale StrideC *= numRows(5) * bpe
s_add_u32  s[sgprSrdC+0], s[sgprSrdC+0], s32       // incToNextRow: gra SRD += inc(lower)
s_addc_u32  s[sgprSrdC+1], s[sgprSrdC+1], 0        // incToNextRow: gra SRD += inc(upper)
_buffer_load_b32 v148, v135, s[sgprSrdC:sgprSrdC+3], 0, offen offset:0,  glc slc // load C for beta calc
/* (d1,vc1,d0,vc0)=(8,0,1,0) */
_buffer_load_b32 v150, v135, s[sgprSrdC:sgprSrdC+3], 0, offen offset:512,  glc slc // load C for beta calc
/* (d1,vc1,d0,vc0)=(8,1,0,0) */
s_lshl_b32  s32, s[sgprStrideC1J], 2               // incToNextRow: Scale by BPE
s_add_u32  s[sgprSrdC+0], s[sgprSrdC+0], s32       // incToNextRow: gra SRD += inc(lower)
s_addc_u32  s[sgprSrdC+1], s[sgprSrdC+1], 0        // incToNextRow: gra SRD += inc(upper)
_buffer_load_b32 v152, v135, s[sgprSrdC:sgprSrdC+3], 0, offen offset:0,  glc slc // load C for beta calc
/* (d1,vc1,d0,vc0)=(8,1,1,0) */
_buffer_load_b32 v154, v135, s[sgprSrdC:sgprSrdC+3], 0, offen offset:512,  glc slc // load C for beta calc
/* (d1,vc1,d0,vc0)=(8,2,0,0) */
s_lshl_b32  s32, s[sgprStrideC1J], 2               // incToNextRow: Scale by BPE
s_add_u32  s[sgprSrdC+0], s[sgprSrdC+0], s32       // incToNextRow: gra SRD += inc(lower)
s_addc_u32  s[sgprSrdC+1], s[sgprSrdC+1], 0        // incToNextRow: gra SRD += inc(upper)
_buffer_load_b32 v156, v135, s[sgprSrdC:sgprSrdC+3], 0, offen offset:0,  glc slc // load C for beta calc
/* (d1,vc1,d0,vc0)=(8,2,1,0) */
_buffer_load_b32 v158, v135, s[sgprSrdC:sgprSrdC+3], 0, offen offset:512,  glc slc // load C for beta calc
/* (d1,vc1,d0,vc0)=(8,3,0,0) */
s_lshl_b32  s32, s[sgprStrideC1J], 2               // incToNextRow: Scale by BPE
s_add_u32  s[sgprSrdC+0], s[sgprSrdC+0], s32       // incToNextRow: gra SRD += inc(lower)
s_addc_u32  s[sgprSrdC+1], s[sgprSrdC+1], 0        // incToNextRow: gra SRD += inc(upper)
_buffer_load_b32 v160, v135, s[sgprSrdC:sgprSrdC+3], 0, offen offset:0,  glc slc // load C for beta calc
/* (d1,vc1,d0,vc0)=(8,3,1,0) */
_buffer_load_b32 v162, v135, s[sgprSrdC:sgprSrdC+3], 0, offen offset:512,  glc slc // load C for beta calc
/* (d1,vc1,d0,vc0)=(9,0,0,0) */
s_mul_i32 s32, s[sgprStrideC1J], 20                // scale StrideC *= numRows(5) * bpe
s_add_u32  s[sgprSrdC+0], s[sgprSrdC+0], s32       // incToNextRow: gra SRD += inc(lower)
s_addc_u32  s[sgprSrdC+1], s[sgprSrdC+1], 0        // incToNextRow: gra SRD += inc(upper)
_buffer_load_b32 v164, v135, s[sgprSrdC:sgprSrdC+3], 0, offen offset:0,  glc slc // load C for beta calc
/* (d1,vc1,d0,vc0)=(9,0,1,0) */
_buffer_load_b32 v166, v135, s[sgprSrdC:sgprSrdC+3], 0, offen offset:512,  glc slc // load C for beta calc
	;; [unrolled: 28-line block ×7, first 2 shown]
/* (d1,vc1,d0,vc0)=(14,1,0,0) */
s_lshl_b32  s32, s[sgprStrideC1J], 2               // incToNextRow: Scale by BPE
s_add_u32  s[sgprSrdC+0], s[sgprSrdC+0], s32       // incToNextRow: gra SRD += inc(lower)
s_addc_u32  s[sgprSrdC+1], s[sgprSrdC+1], 0        // incToNextRow: gra SRD += inc(upper)
_buffer_load_b32 v251, v135, s[sgprSrdC:sgprSrdC+3], 0, offen offset:0,  glc slc // load C for beta calc
/* (d1,vc1,d0,vc0)=(14,1,1,0) */
_buffer_load_b32 v253, v135, s[sgprSrdC:sgprSrdC+3], 0, offen offset:512,  glc slc // load C for beta calc
s_sleep 1 // optimization: sync and wait
s_barrier

/* apply mask, calc new C and issue writes */

s_waitcnt vmcnt(57)                                // wait C (interleaved) 57 = 58 - 0 + 0 - 1
_v_mac_f32 v[vgprValuC+137], v136, s[sgprBeta]     // finalSum = sum*alpha + C*beta
s_lshl_b32  s32, s[sgprStrideD1J], 2               // incToNextRow: Scale by BPE
s_add_u32  s[sgprSrdD+0], s[sgprSrdD+0], s32       // incToNextRow: gra SRD += inc(lower)
s_addc_u32  s[sgprSrdD+1], s[sgprSrdD+1], 0        // incToNextRow: gra SRD += inc(upper)
_buffer_store_b32 v137, v134, s[sgprSrdD:sgprSrdD+3], 0, offen, offset:0,  glc slc // store D

s_waitcnt vmcnt(57)                                // wait C (interleaved) 57 = 58 - 1 + 1 - 1
_v_mac_f32 v[vgprValuC+139], v138, s[sgprBeta]     // finalSum = sum*alpha + C*beta
_buffer_store_b32 v139, v134, s[sgprSrdD:sgprSrdD+3], 0, offen, offset:512,  glc slc // store D

s_waitcnt vmcnt(57)                                // wait C (interleaved) 57 = 58 - 2 + 2 - 1
_v_mac_f32 v[vgprValuC+141], v140, s[sgprBeta]     // finalSum = sum*alpha + C*beta
s_lshl_b32  s32, s[sgprStrideD1J], 2               // incToNextRow: Scale by BPE
s_add_u32  s[sgprSrdD+0], s[sgprSrdD+0], s32       // incToNextRow: gra SRD += inc(lower)
s_addc_u32  s[sgprSrdD+1], s[sgprSrdD+1], 0        // incToNextRow: gra SRD += inc(upper)
_buffer_store_b32 v141, v134, s[sgprSrdD:sgprSrdD+3], 0, offen, offset:0,  glc slc // store D

s_waitcnt vmcnt(57)                                // wait C (interleaved) 57 = 58 - 3 + 3 - 1
_v_mac_f32 v[vgprValuC+143], v142, s[sgprBeta]     // finalSum = sum*alpha + C*beta
_buffer_store_b32 v143, v134, s[sgprSrdD:sgprSrdD+3], 0, offen, offset:512,  glc slc // store D

s_waitcnt vmcnt(57)                                // wait C (interleaved) 57 = 58 - 4 + 4 - 1
_v_mac_f32 v[vgprValuC+145], v144, s[sgprBeta]     // finalSum = sum*alpha + C*beta
s_lshl_b32  s32, s[sgprStrideD1J], 2               // incToNextRow: Scale by BPE
s_add_u32  s[sgprSrdD+0], s[sgprSrdD+0], s32       // incToNextRow: gra SRD += inc(lower)
s_addc_u32  s[sgprSrdD+1], s[sgprSrdD+1], 0        // incToNextRow: gra SRD += inc(upper)
_buffer_store_b32 v145, v134, s[sgprSrdD:sgprSrdD+3], 0, offen, offset:0,  glc slc // store D

s_waitcnt vmcnt(57)                                // wait C (interleaved) 57 = 58 - 5 + 5 - 1
_v_mac_f32 v[vgprValuC+147], v146, s[sgprBeta]     // finalSum = sum*alpha + C*beta
_buffer_store_b32 v147, v134, s[sgprSrdD:sgprSrdD+3], 0, offen, offset:512,  glc slc // store D

s_waitcnt vmcnt(57)                                // wait C (interleaved) 57 = 58 - 6 + 6 - 1
_v_mac_f32 v[vgprValuC+149], v148, s[sgprBeta]     // finalSum = sum*alpha + C*beta
s_mul_i32 s32, s[sgprStrideD1J], 20                // scale StrideD *= numRows(5) * bpe
s_add_u32  s[sgprSrdD+0], s[sgprSrdD+0], s32       // incToNextRow: gra SRD += inc(lower)
s_addc_u32  s[sgprSrdD+1], s[sgprSrdD+1], 0        // incToNextRow: gra SRD += inc(upper)
_buffer_store_b32 v149, v134, s[sgprSrdD:sgprSrdD+3], 0, offen, offset:0,  glc slc // store D

s_waitcnt vmcnt(57)                                // wait C (interleaved) 57 = 58 - 7 + 7 - 1
_v_mac_f32 v[vgprValuC+151], v150, s[sgprBeta]     // finalSum = sum*alpha + C*beta
_buffer_store_b32 v151, v134, s[sgprSrdD:sgprSrdD+3], 0, offen, offset:512,  glc slc // store D

s_waitcnt vmcnt(57)                                // wait C (interleaved) 57 = 58 - 8 + 8 - 1
_v_mac_f32 v[vgprValuC+153], v152, s[sgprBeta]     // finalSum = sum*alpha + C*beta
s_lshl_b32  s32, s[sgprStrideD1J], 2               // incToNextRow: Scale by BPE
s_add_u32  s[sgprSrdD+0], s[sgprSrdD+0], s32       // incToNextRow: gra SRD += inc(lower)
s_addc_u32  s[sgprSrdD+1], s[sgprSrdD+1], 0        // incToNextRow: gra SRD += inc(upper)
_buffer_store_b32 v153, v134, s[sgprSrdD:sgprSrdD+3], 0, offen, offset:0,  glc slc // store D

s_waitcnt vmcnt(57)                                // wait C (interleaved) 57 = 58 - 9 + 9 - 1
_v_mac_f32 v[vgprValuC+155], v154, s[sgprBeta]     // finalSum = sum*alpha + C*beta
_buffer_store_b32 v155, v134, s[sgprSrdD:sgprSrdD+3], 0, offen, offset:512,  glc slc // store D

s_waitcnt vmcnt(57)                                // wait C (interleaved) 57 = 58 - 10 + 10 - 1
_v_mac_f32 v[vgprValuC+157], v156, s[sgprBeta]     // finalSum = sum*alpha + C*beta
s_lshl_b32  s32, s[sgprStrideD1J], 2               // incToNextRow: Scale by BPE
s_add_u32  s[sgprSrdD+0], s[sgprSrdD+0], s32       // incToNextRow: gra SRD += inc(lower)
s_addc_u32  s[sgprSrdD+1], s[sgprSrdD+1], 0        // incToNextRow: gra SRD += inc(upper)
_buffer_store_b32 v157, v134, s[sgprSrdD:sgprSrdD+3], 0, offen, offset:0,  glc slc // store D

s_waitcnt vmcnt(57)                                // wait C (interleaved) 57 = 58 - 11 + 11 - 1
_v_mac_f32 v[vgprValuC+159], v158, s[sgprBeta]     // finalSum = sum*alpha + C*beta
_buffer_store_b32 v159, v134, s[sgprSrdD:sgprSrdD+3], 0, offen, offset:512,  glc slc // store D

s_waitcnt vmcnt(57)                                // wait C (interleaved) 57 = 58 - 12 + 12 - 1
_v_mac_f32 v[vgprValuC+161], v160, s[sgprBeta]     // finalSum = sum*alpha + C*beta
s_lshl_b32  s32, s[sgprStrideD1J], 2               // incToNextRow: Scale by BPE
s_add_u32  s[sgprSrdD+0], s[sgprSrdD+0], s32       // incToNextRow: gra SRD += inc(lower)
s_addc_u32  s[sgprSrdD+1], s[sgprSrdD+1], 0        // incToNextRow: gra SRD += inc(upper)
_buffer_store_b32 v161, v134, s[sgprSrdD:sgprSrdD+3], 0, offen, offset:0,  glc slc // store D

s_waitcnt vmcnt(57)                                // wait C (interleaved) 57 = 58 - 13 + 13 - 1
_v_mac_f32 v[vgprValuC+163], v162, s[sgprBeta]     // finalSum = sum*alpha + C*beta
_buffer_store_b32 v163, v134, s[sgprSrdD:sgprSrdD+3], 0, offen, offset:512,  glc slc // store D

s_waitcnt vmcnt(57)                                // wait C (interleaved) 57 = 58 - 14 + 14 - 1
_v_mac_f32 v[vgprValuC+165], v164, s[sgprBeta]     // finalSum = sum*alpha + C*beta
s_mul_i32 s32, s[sgprStrideD1J], 20                // scale StrideD *= numRows(5) * bpe
s_add_u32  s[sgprSrdD+0], s[sgprSrdD+0], s32       // incToNextRow: gra SRD += inc(lower)
s_addc_u32  s[sgprSrdD+1], s[sgprSrdD+1], 0        // incToNextRow: gra SRD += inc(upper)
_buffer_store_b32 v165, v134, s[sgprSrdD:sgprSrdD+3], 0, offen, offset:0,  glc slc // store D

s_waitcnt vmcnt(57)                                // wait C (interleaved) 57 = 58 - 15 + 15 - 1
_v_mac_f32 v[vgprValuC+167], v166, s[sgprBeta]     // finalSum = sum*alpha + C*beta
_buffer_store_b32 v167, v134, s[sgprSrdD:sgprSrdD+3], 0, offen, offset:512,  glc slc // store D
	;; [unrolled: 44-line block ×7, first 2 shown]

s_waitcnt vmcnt(57)                                // wait C (interleaved) 57 = 58 - 56 + 56 - 1
_v_mac_f32 v[vgprValuC+252], v251, s[sgprBeta]     // finalSum = sum*alpha + C*beta
s_lshl_b32  s32, s[sgprStrideD1J], 2               // incToNextRow: Scale by BPE
s_add_u32  s[sgprSrdD+0], s[sgprSrdD+0], s32       // incToNextRow: gra SRD += inc(lower)
s_addc_u32  s[sgprSrdD+1], s[sgprSrdD+1], 0        // incToNextRow: gra SRD += inc(upper)
_buffer_store_b32 v252, v134, s[sgprSrdD:sgprSrdD+3], 0, offen, offset:0,  glc slc // store D

s_waitcnt vmcnt(57)                                // wait C (interleaved) 57 = 58 - 57 + 57 - 1
_v_mac_f32 v[vgprValuC+254], v253, s[sgprBeta]     // finalSum = sum*alpha + C*beta
_buffer_store_b32 v254, v134, s[sgprSrdD:sgprSrdD+3], 0, offen, offset:512,  glc slc // store D
s_nop 0                                            // 1 wait state required when next inst writes vgprs held by previous dwordx4 store inst
/* optSingleColVgpr=1 optSharedColVgpr=0 optSGPRUsage=BufferLoad_Mask optSrdIncForRow=1 */
s_sleep 1 // optimization: sync and wait
s_barrier

/******************************************/
/* Global Write Alpha Beta Batch #2 (d1,d0,vc1,vc0) = */
/*    (14,0,2,0:vw1); (14,1,2,0:vw1); (14,0,3,0:vw1); (14,1,3,0:vw1); (15,0,0,0:vw1); (15,1,0,0:vw1); (15,0,1,0:vw1); (15,1,1,0:vw1); (15,0,2,0:vw1); (15,1,2,0:vw1); (15,0,3,0:vw1); (15,1,3,0:vw1) */
/******************************************/

/* calc coords, apply mask, and issue loads (if necessary) */

/* rC *= alpha batchElements=[(14, 0, 2, 0), (14, 1, 2, 0), (14, 0, 3, 0), (14, 1, 3, 0), (15, 0, 0, 0), (15, 1, 0, 0), (15, 0, 1, 0), (15, 1, 1, 0), (15, 0, 2, 0), (15, 1, 2, 0), (15, 0, 3, 0), (15, 1, 3, 0)] */
v_mul_f32 v[vgprValuC+137], s[sgprAlpha], v[vgprValuC+106] // Multiply MI out reg with alpha
v_mul_f32 v[vgprValuC+139], s[sgprAlpha], v[vgprValuC+122] // Multiply MI out reg with alpha
	;; [unrolled: 1-line block ×12, first 2 shown]
/* (d1,vc1,d0,vc0)=(14,2,0,0) */
s_lshl_b32  s32, s[sgprStrideC1J], 2               // incToNextRow: Scale by BPE
s_add_u32  s[sgprSrdC+0], s[sgprSrdC+0], s32       // incToNextRow: gra SRD += inc(lower)
s_addc_u32  s[sgprSrdC+1], s[sgprSrdC+1], 0        // incToNextRow: gra SRD += inc(upper)
_buffer_load_b32 v136, v135, s[sgprSrdC:sgprSrdC+3], 0, offen offset:0,  glc slc // load C for beta calc
/* (d1,vc1,d0,vc0)=(14,2,1,0) */
_buffer_load_b32 v138, v135, s[sgprSrdC:sgprSrdC+3], 0, offen offset:512,  glc slc // load C for beta calc
/* (d1,vc1,d0,vc0)=(14,3,0,0) */
s_lshl_b32  s32, s[sgprStrideC1J], 2               // incToNextRow: Scale by BPE
s_add_u32  s[sgprSrdC+0], s[sgprSrdC+0], s32       // incToNextRow: gra SRD += inc(lower)
s_addc_u32  s[sgprSrdC+1], s[sgprSrdC+1], 0        // incToNextRow: gra SRD += inc(upper)
_buffer_load_b32 v140, v135, s[sgprSrdC:sgprSrdC+3], 0, offen offset:0,  glc slc // load C for beta calc
/* (d1,vc1,d0,vc0)=(14,3,1,0) */
_buffer_load_b32 v142, v135, s[sgprSrdC:sgprSrdC+3], 0, offen offset:512,  glc slc // load C for beta calc
/* (d1,vc1,d0,vc0)=(15,0,0,0) */
s_mul_i32 s32, s[sgprStrideC1J], 20                // scale StrideC *= numRows(5) * bpe
s_add_u32  s[sgprSrdC+0], s[sgprSrdC+0], s32       // incToNextRow: gra SRD += inc(lower)
s_addc_u32  s[sgprSrdC+1], s[sgprSrdC+1], 0        // incToNextRow: gra SRD += inc(upper)
_buffer_load_b32 v144, v135, s[sgprSrdC:sgprSrdC+3], 0, offen offset:0,  glc slc // load C for beta calc
/* (d1,vc1,d0,vc0)=(15,0,1,0) */
_buffer_load_b32 v146, v135, s[sgprSrdC:sgprSrdC+3], 0, offen offset:512,  glc slc // load C for beta calc
/* (d1,vc1,d0,vc0)=(15,1,0,0) */
s_lshl_b32  s32, s[sgprStrideC1J], 2               // incToNextRow: Scale by BPE
s_add_u32  s[sgprSrdC+0], s[sgprSrdC+0], s32       // incToNextRow: gra SRD += inc(lower)
s_addc_u32  s[sgprSrdC+1], s[sgprSrdC+1], 0        // incToNextRow: gra SRD += inc(upper)
_buffer_load_b32 v148, v135, s[sgprSrdC:sgprSrdC+3], 0, offen offset:0,  glc slc // load C for beta calc
/* (d1,vc1,d0,vc0)=(15,1,1,0) */
_buffer_load_b32 v150, v135, s[sgprSrdC:sgprSrdC+3], 0, offen offset:512,  glc slc // load C for beta calc
/* (d1,vc1,d0,vc0)=(15,2,0,0) */
s_lshl_b32  s32, s[sgprStrideC1J], 2               // incToNextRow: Scale by BPE
	;; [unrolled: 7-line block ×3, first 2 shown]
s_add_u32  s[sgprSrdC+0], s[sgprSrdC+0], s32       // incToNextRow: gra SRD += inc(lower)
s_addc_u32  s[sgprSrdC+1], s[sgprSrdC+1], 0        // incToNextRow: gra SRD += inc(upper)
_buffer_load_b32 v156, v135, s[sgprSrdC:sgprSrdC+3], 0, offen offset:0,  glc slc // load C for beta calc
/* (d1,vc1,d0,vc0)=(15,3,1,0) */
_buffer_load_b32 v158, v135, s[sgprSrdC:sgprSrdC+3], 0, offen offset:512,  glc slc // load C for beta calc
s_sleep 1 // optimization: sync and wait
s_barrier

/* apply mask, calc new C and issue writes */

s_waitcnt vmcnt(11)                                // wait C (interleaved) 11 = 12 - 0 + 0 - 1
_v_mac_f32 v[vgprValuC+137], v136, s[sgprBeta]     // finalSum = sum*alpha + C*beta
s_lshl_b32  s32, s[sgprStrideD1J], 2               // incToNextRow: Scale by BPE
s_add_u32  s[sgprSrdD+0], s[sgprSrdD+0], s32       // incToNextRow: gra SRD += inc(lower)
s_addc_u32  s[sgprSrdD+1], s[sgprSrdD+1], 0        // incToNextRow: gra SRD += inc(upper)
_buffer_store_b32 v137, v134, s[sgprSrdD:sgprSrdD+3], 0, offen, offset:0,  glc slc // store D

s_waitcnt vmcnt(11)                                // wait C (interleaved) 11 = 12 - 1 + 1 - 1
_v_mac_f32 v[vgprValuC+139], v138, s[sgprBeta]     // finalSum = sum*alpha + C*beta
_buffer_store_b32 v139, v134, s[sgprSrdD:sgprSrdD+3], 0, offen, offset:512,  glc slc // store D

s_waitcnt vmcnt(11)                                // wait C (interleaved) 11 = 12 - 2 + 2 - 1
_v_mac_f32 v[vgprValuC+141], v140, s[sgprBeta]     // finalSum = sum*alpha + C*beta
s_lshl_b32  s32, s[sgprStrideD1J], 2               // incToNextRow: Scale by BPE
s_add_u32  s[sgprSrdD+0], s[sgprSrdD+0], s32       // incToNextRow: gra SRD += inc(lower)
s_addc_u32  s[sgprSrdD+1], s[sgprSrdD+1], 0        // incToNextRow: gra SRD += inc(upper)
_buffer_store_b32 v141, v134, s[sgprSrdD:sgprSrdD+3], 0, offen, offset:0,  glc slc // store D

s_waitcnt vmcnt(11)                                // wait C (interleaved) 11 = 12 - 3 + 3 - 1
_v_mac_f32 v[vgprValuC+143], v142, s[sgprBeta]     // finalSum = sum*alpha + C*beta
_buffer_store_b32 v143, v134, s[sgprSrdD:sgprSrdD+3], 0, offen, offset:512,  glc slc // store D

s_waitcnt vmcnt(11)                                // wait C (interleaved) 11 = 12 - 4 + 4 - 1
_v_mac_f32 v[vgprValuC+145], v144, s[sgprBeta]     // finalSum = sum*alpha + C*beta
s_mul_i32 s32, s[sgprStrideD1J], 20                // scale StrideD *= numRows(5) * bpe
s_add_u32  s[sgprSrdD+0], s[sgprSrdD+0], s32       // incToNextRow: gra SRD += inc(lower)
s_addc_u32  s[sgprSrdD+1], s[sgprSrdD+1], 0        // incToNextRow: gra SRD += inc(upper)
_buffer_store_b32 v145, v134, s[sgprSrdD:sgprSrdD+3], 0, offen, offset:0,  glc slc // store D

s_waitcnt vmcnt(11)                                // wait C (interleaved) 11 = 12 - 5 + 5 - 1
_v_mac_f32 v[vgprValuC+147], v146, s[sgprBeta]     // finalSum = sum*alpha + C*beta
_buffer_store_b32 v147, v134, s[sgprSrdD:sgprSrdD+3], 0, offen, offset:512,  glc slc // store D

s_waitcnt vmcnt(11)                                // wait C (interleaved) 11 = 12 - 6 + 6 - 1
_v_mac_f32 v[vgprValuC+149], v148, s[sgprBeta]     // finalSum = sum*alpha + C*beta
s_lshl_b32  s32, s[sgprStrideD1J], 2               // incToNextRow: Scale by BPE
s_add_u32  s[sgprSrdD+0], s[sgprSrdD+0], s32       // incToNextRow: gra SRD += inc(lower)
s_addc_u32  s[sgprSrdD+1], s[sgprSrdD+1], 0        // incToNextRow: gra SRD += inc(upper)
_buffer_store_b32 v149, v134, s[sgprSrdD:sgprSrdD+3], 0, offen, offset:0,  glc slc // store D

s_waitcnt vmcnt(11)                                // wait C (interleaved) 11 = 12 - 7 + 7 - 1
_v_mac_f32 v[vgprValuC+151], v150, s[sgprBeta]     // finalSum = sum*alpha + C*beta
_buffer_store_b32 v151, v134, s[sgprSrdD:sgprSrdD+3], 0, offen, offset:512,  glc slc // store D

s_waitcnt vmcnt(11)                                // wait C (interleaved) 11 = 12 - 8 + 8 - 1
_v_mac_f32 v[vgprValuC+153], v152, s[sgprBeta]     // finalSum = sum*alpha + C*beta
s_lshl_b32  s32, s[sgprStrideD1J], 2               // incToNextRow: Scale by BPE
	;; [unrolled: 11-line block ×3, first 2 shown]
s_add_u32  s[sgprSrdD+0], s[sgprSrdD+0], s32       // incToNextRow: gra SRD += inc(lower)
s_addc_u32  s[sgprSrdD+1], s[sgprSrdD+1], 0        // incToNextRow: gra SRD += inc(upper)
_buffer_store_b32 v157, v134, s[sgprSrdD:sgprSrdD+3], 0, offen, offset:0,  glc slc // store D

s_waitcnt vmcnt(11)                                // wait C (interleaved) 11 = 12 - 11 + 11 - 1
_v_mac_f32 v[vgprValuC+159], v158, s[sgprBeta]     // finalSum = sum*alpha + C*beta
_buffer_store_b32 v159, v134, s[sgprSrdD:sgprSrdD+3], 0, offen, offset:512,  glc slc // store D
s_nop 0                                            // 1 wait state required when next inst writes vgprs held by previous dwordx4 store inst
s_branch label_GW_End_348                          // jump to end
GW_B1_E1_347:

/* edge=1, allocate 6 sgpr. perBatchTmpS=4 perBatchMaskS=2 perElementMaskS=0 elementsPerBatch=38 */
/* optSingleColVgpr=0 optSharedColVgpr=0 optSGPRUsage=BufferLoad_Edge_Mask optSrdIncForRow=0 */
s_sleep 1 // optimization: sync and wait
s_barrier

/******************************************/
/* Global Write Alpha Beta Edge Batch #0 (d1,d0,vc1,vc0) = */
/*    (0,0,0,0:vw1); (0,1,0,0:vw1); (0,0,1,0:vw1); (0,1,1,0:vw1); (0,0,2,0:vw1); (0,1,2,0:vw1); (0,0,3,0:vw1); (0,1,3,0:vw1); (1,0,0,0:vw1); (1,1,0,0:vw1); (1,0,1,0:vw1); (1,1,1,0:vw1); (1,0,2,0:vw1); (1,1,2,0:vw1); (1,0,3,0:vw1); (1,1,3,0:vw1); (2,0,0,0:vw1); (2,1,0,0:vw1); (2,0,1,0:vw1); (2,1,1,0:vw1); (2,0,2,0:vw1); (2,1,2,0:vw1); (2,0,3,0:vw1); (2,1,3,0:vw1); (3,0,0,0:vw1); (3,1,0,0:vw1); (3,0,1,0:vw1); (3,1,1,0:vw1); (3,0,2,0:vw1); (3,1,2,0:vw1); (3,0,3,0:vw1); (3,1,3,0:vw1); (4,0,0,0:vw1); (4,1,0,0:vw1); (4,0,1,0:vw1); (4,1,1,0:vw1); (4,0,2,0:vw1); (4,1,2,0:vw1) */
/******************************************/

/* calc coords, apply mask, and issue loads (if necessary) */

/* rC *= alpha batchElements=[(0, 0, 0, 0), (0, 1, 0, 0), (0, 0, 1, 0), (0, 1, 1, 0), (0, 0, 2, 0), (0, 1, 2, 0), (0, 0, 3, 0), (0, 1, 3, 0), (1, 0, 0, 0), (1, 1, 0, 0), (1, 0, 1, 0), (1, 1, 1, 0), (1, 0, 2, 0), (1, 1, 2, 0), (1, 0, 3, 0), (1, 1, 3, 0), (2, 0, 0, 0), (2, 1, 0, 0), (2, 0, 1, 0), (2, 1, 1, 0), (2, 0, 2, 0), (2, 1, 2, 0), (2, 0, 3, 0), (2, 1, 3, 0), (3, 0, 0, 0), (3, 1, 0, 0), (3, 0, 1, 0), (3, 1, 1, 0), (3, 0, 2, 0), (3, 1, 2, 0), (3, 0, 3, 0), (3, 1, 3, 0), (4, 0, 0, 0), (4, 1, 0, 0), (4, 0, 1, 0), (4, 1, 1, 0), (4, 0, 2, 0), (4, 1, 2, 0)] */
v_mul_f32 v[vgprValuC+136], s[sgprAlpha], v[vgprValuC+0] // Multiply MI out reg with alpha
v_mul_f32 v[vgprValuC+139], s[sgprAlpha], v[vgprValuC+16] // Multiply MI out reg with alpha
	;; [unrolled: 1-line block ×38, first 2 shown]
/* (d1,vc1,d0,vc0)=(0,0,0,0) */
v_cmp_lt_u32 s[52:53], v128, s[sgprSizeI]          // coord0 < size0
v_cmp_lt_u32 s[56:57], v129, s[sgprSizeJ]          // coord1 < size1
s_and_b64 s[56:57], s[52:53], s[56:57]             // in0 && in1
_v_add_lshl_u32 v134, v130, v128, 0x2              // scaleToBpe: accumulate d0 lower and *= bpe into Cin addr
v_cndmask_b32 v134, -1, v134, s[56:57]             // LDC clip if OOB. offset
_buffer_load_b32 v135, v134, s[sgprSrdC:sgprSrdC+3], 0, offen offset:0,  glc slc // load C for beta calc
_v_add_lshl_u32 v134, v131, v128, 0x2              // scaleToBpe: accumulate d0 lower and *= bpe into Cin addr
v_cndmask_b32 v134, -1, v134, s[56:57]             // LDD clip if OOB. offset
/* (d1,vc1,d0,vc0)=(0,0,1,0) */
s_mov_b32 s52, 128                                 // coordOffset0 d0=1 vc0=0
_v_add_co_u32 v132, vcc, v128, s52                 // coord0.2: coord0 += d0*sg0*VW + vc0
v_cmp_lt_u32 s[52:53], v132, s[sgprSizeI]          // coord0 < size0
v_cmp_lt_u32 s[56:57], v129, s[sgprSizeJ]          // coord1 < size1
s_and_b64 s[56:57], s[52:53], s[56:57]             // in0 && in1
_v_add_lshl_u32 v137, v130, v132, 0x2              // scaleToBpe: accumulate d0 lower and *= bpe into Cin addr
v_cndmask_b32 v137, -1, v137, s[56:57]             // LDC clip if OOB. offset
_buffer_load_b32 v138, v137, s[sgprSrdC:sgprSrdC+3], 0, offen offset:0,  glc slc // load C for beta calc
_v_add_lshl_u32 v137, v131, v132, 0x2              // scaleToBpe: accumulate d0 lower and *= bpe into Cin addr
v_cndmask_b32 v137, -1, v137, s[56:57]             // LDD clip if OOB. offset
/* (d1,vc1,d0,vc0)=(0,1,0,0) */
_v_add_co_u32 v129, vcc, v129, 1                   // coord1.1: coord1Vgpr += d1*sg1*VW + vc1

/* Fix for UseInitialStridesCD, emitAddressSetupCode */
_v_add_u32 v130, v130, s[sgprStrideC1J]            // ROWINC- Move cinRowPtr to next row
_v_add_u32 v131, v131, s[sgprStrideD1J]            // Move coutRowPtr to next row
v_cmp_lt_u32 s[52:53], v128, s[sgprSizeI]          // coord0 < size0
v_cmp_lt_u32 s[56:57], v129, s[sgprSizeJ]          // coord1 < size1
s_and_b64 s[56:57], s[52:53], s[56:57]             // in0 && in1
_v_add_lshl_u32 v140, v130, v128, 0x2              // scaleToBpe: accumulate d0 lower and *= bpe into Cin addr
v_cndmask_b32 v140, -1, v140, s[56:57]             // LDC clip if OOB. offset
_buffer_load_b32 v141, v140, s[sgprSrdC:sgprSrdC+3], 0, offen offset:0,  glc slc // load C for beta calc
_v_add_lshl_u32 v140, v131, v128, 0x2              // scaleToBpe: accumulate d0 lower and *= bpe into Cin addr
v_cndmask_b32 v140, -1, v140, s[56:57]             // LDD clip if OOB. offset
/* (d1,vc1,d0,vc0)=(0,1,1,0) */
s_mov_b32 s52, 128                                 // coordOffset0 d0=1 vc0=0
_v_add_co_u32 v132, vcc, v128, s52                 // coord0.2: coord0 += d0*sg0*VW + vc0
v_cmp_lt_u32 s[52:53], v132, s[sgprSizeI]          // coord0 < size0
v_cmp_lt_u32 s[56:57], v129, s[sgprSizeJ]          // coord1 < size1
s_and_b64 s[56:57], s[52:53], s[56:57]             // in0 && in1
_v_add_lshl_u32 v143, v130, v132, 0x2              // scaleToBpe: accumulate d0 lower and *= bpe into Cin addr
v_cndmask_b32 v143, -1, v143, s[56:57]             // LDC clip if OOB. offset
_buffer_load_b32 v144, v143, s[sgprSrdC:sgprSrdC+3], 0, offen offset:0,  glc slc // load C for beta calc
_v_add_lshl_u32 v143, v131, v132, 0x2              // scaleToBpe: accumulate d0 lower and *= bpe into Cin addr
v_cndmask_b32 v143, -1, v143, s[56:57]             // LDD clip if OOB. offset
/* (d1,vc1,d0,vc0)=(0,2,0,0) */
_v_add_co_u32 v129, vcc, v129, 1                   // coord1.1: coord1Vgpr += d1*sg1*VW + vc1

/* Fix for UseInitialStridesCD, emitAddressSetupCode */
_v_add_u32 v130, v130, s[sgprStrideC1J]            // ROWINC- Move cinRowPtr to next row
_v_add_u32 v131, v131, s[sgprStrideD1J]            // Move coutRowPtr to next row
	;; [unrolled: 25-line block ×3, first 2 shown]
v_cmp_lt_u32 s[52:53], v128, s[sgprSizeI]          // coord0 < size0
v_cmp_lt_u32 s[56:57], v129, s[sgprSizeJ]          // coord1 < size1
s_and_b64 s[56:57], s[52:53], s[56:57]             // in0 && in1
_v_add_lshl_u32 v152, v130, v128, 0x2              // scaleToBpe: accumulate d0 lower and *= bpe into Cin addr
v_cndmask_b32 v152, -1, v152, s[56:57]             // LDC clip if OOB. offset
_buffer_load_b32 v153, v152, s[sgprSrdC:sgprSrdC+3], 0, offen offset:0,  glc slc // load C for beta calc
_v_add_lshl_u32 v152, v131, v128, 0x2              // scaleToBpe: accumulate d0 lower and *= bpe into Cin addr
v_cndmask_b32 v152, -1, v152, s[56:57]             // LDD clip if OOB. offset
/* (d1,vc1,d0,vc0)=(0,3,1,0) */
s_mov_b32 s52, 128                                 // coordOffset0 d0=1 vc0=0
_v_add_co_u32 v132, vcc, v128, s52                 // coord0.2: coord0 += d0*sg0*VW + vc0
v_cmp_lt_u32 s[52:53], v132, s[sgprSizeI]          // coord0 < size0
v_cmp_lt_u32 s[56:57], v129, s[sgprSizeJ]          // coord1 < size1
s_and_b64 s[56:57], s[52:53], s[56:57]             // in0 && in1
_v_add_lshl_u32 v155, v130, v132, 0x2              // scaleToBpe: accumulate d0 lower and *= bpe into Cin addr
v_cndmask_b32 v155, -1, v155, s[56:57]             // LDC clip if OOB. offset
_buffer_load_b32 v156, v155, s[sgprSrdC:sgprSrdC+3], 0, offen offset:0,  glc slc // load C for beta calc
_v_add_lshl_u32 v155, v131, v132, 0x2              // scaleToBpe: accumulate d0 lower and *= bpe into Cin addr
v_cndmask_b32 v155, -1, v155, s[56:57]             // LDD clip if OOB. offset
/* (d1,vc1,d0,vc0)=(1,0,0,0) */
_v_add_co_u32 v129, vcc, v129, 5                   // coord1.1: coord1Vgpr += d1*sg1*VW + vc1

/* Fix for UseInitialStridesCD, emitAddressSetupCode */
s_mul_i32 s52, s[sgprStrideC1J], 5                 // scale stride
_v_add_u32 v130, v130, s52                         // ROWINC- Move cinRowPtr to next row
s_mul_i32 s52, s[sgprStrideD1J], 5                 // scale stride
_v_add_u32 v131, v131, s52                         // Move coutRowPtr to next row
v_cmp_lt_u32 s[52:53], v128, s[sgprSizeI]          // coord0 < size0
v_cmp_lt_u32 s[56:57], v129, s[sgprSizeJ]          // coord1 < size1
s_and_b64 s[56:57], s[52:53], s[56:57]             // in0 && in1
_v_add_lshl_u32 v158, v130, v128, 0x2              // scaleToBpe: accumulate d0 lower and *= bpe into Cin addr
v_cndmask_b32 v158, -1, v158, s[56:57]             // LDC clip if OOB. offset
_buffer_load_b32 v159, v158, s[sgprSrdC:sgprSrdC+3], 0, offen offset:0,  glc slc // load C for beta calc
_v_add_lshl_u32 v158, v131, v128, 0x2              // scaleToBpe: accumulate d0 lower and *= bpe into Cin addr
v_cndmask_b32 v158, -1, v158, s[56:57]             // LDD clip if OOB. offset
/* (d1,vc1,d0,vc0)=(1,0,1,0) */
s_mov_b32 s52, 128                                 // coordOffset0 d0=1 vc0=0
_v_add_co_u32 v132, vcc, v128, s52                 // coord0.2: coord0 += d0*sg0*VW + vc0
v_cmp_lt_u32 s[52:53], v132, s[sgprSizeI]          // coord0 < size0
v_cmp_lt_u32 s[56:57], v129, s[sgprSizeJ]          // coord1 < size1
s_and_b64 s[56:57], s[52:53], s[56:57]             // in0 && in1
_v_add_lshl_u32 v161, v130, v132, 0x2              // scaleToBpe: accumulate d0 lower and *= bpe into Cin addr
v_cndmask_b32 v161, -1, v161, s[56:57]             // LDC clip if OOB. offset
_buffer_load_b32 v162, v161, s[sgprSrdC:sgprSrdC+3], 0, offen offset:0,  glc slc // load C for beta calc
_v_add_lshl_u32 v161, v131, v132, 0x2              // scaleToBpe: accumulate d0 lower and *= bpe into Cin addr
v_cndmask_b32 v161, -1, v161, s[56:57]             // LDD clip if OOB. offset
/* (d1,vc1,d0,vc0)=(1,1,0,0) */
_v_add_co_u32 v129, vcc, v129, 1                   // coord1.1: coord1Vgpr += d1*sg1*VW + vc1

/* Fix for UseInitialStridesCD, emitAddressSetupCode */
_v_add_u32 v130, v130, s[sgprStrideC1J]            // ROWINC- Move cinRowPtr to next row
_v_add_u32 v131, v131, s[sgprStrideD1J]            // Move coutRowPtr to next row
v_cmp_lt_u32 s[52:53], v128, s[sgprSizeI]          // coord0 < size0
v_cmp_lt_u32 s[56:57], v129, s[sgprSizeJ]          // coord1 < size1
s_and_b64 s[56:57], s[52:53], s[56:57]             // in0 && in1
_v_add_lshl_u32 v164, v130, v128, 0x2              // scaleToBpe: accumulate d0 lower and *= bpe into Cin addr
v_cndmask_b32 v164, -1, v164, s[56:57]             // LDC clip if OOB. offset
_buffer_load_b32 v165, v164, s[sgprSrdC:sgprSrdC+3], 0, offen offset:0,  glc slc // load C for beta calc
_v_add_lshl_u32 v164, v131, v128, 0x2              // scaleToBpe: accumulate d0 lower and *= bpe into Cin addr
v_cndmask_b32 v164, -1, v164, s[56:57]             // LDD clip if OOB. offset
/* (d1,vc1,d0,vc0)=(1,1,1,0) */
s_mov_b32 s52, 128                                 // coordOffset0 d0=1 vc0=0
_v_add_co_u32 v132, vcc, v128, s52                 // coord0.2: coord0 += d0*sg0*VW + vc0
v_cmp_lt_u32 s[52:53], v132, s[sgprSizeI]          // coord0 < size0
v_cmp_lt_u32 s[56:57], v129, s[sgprSizeJ]          // coord1 < size1
s_and_b64 s[56:57], s[52:53], s[56:57]             // in0 && in1
_v_add_lshl_u32 v167, v130, v132, 0x2              // scaleToBpe: accumulate d0 lower and *= bpe into Cin addr
v_cndmask_b32 v167, -1, v167, s[56:57]             // LDC clip if OOB. offset
_buffer_load_b32 v168, v167, s[sgprSrdC:sgprSrdC+3], 0, offen offset:0,  glc slc // load C for beta calc
_v_add_lshl_u32 v167, v131, v132, 0x2              // scaleToBpe: accumulate d0 lower and *= bpe into Cin addr
v_cndmask_b32 v167, -1, v167, s[56:57]             // LDD clip if OOB. offset
/* (d1,vc1,d0,vc0)=(1,2,0,0) */
_v_add_co_u32 v129, vcc, v129, 1                   // coord1.1: coord1Vgpr += d1*sg1*VW + vc1

/* Fix for UseInitialStridesCD, emitAddressSetupCode */
_v_add_u32 v130, v130, s[sgprStrideC1J]            // ROWINC- Move cinRowPtr to next row
_v_add_u32 v131, v131, s[sgprStrideD1J]            // Move coutRowPtr to next row
	;; [unrolled: 25-line block ×3, first 2 shown]
v_cmp_lt_u32 s[52:53], v128, s[sgprSizeI]          // coord0 < size0
v_cmp_lt_u32 s[56:57], v129, s[sgprSizeJ]          // coord1 < size1
s_and_b64 s[56:57], s[52:53], s[56:57]             // in0 && in1
_v_add_lshl_u32 v179, v130, v128, 0x2              // scaleToBpe: accumulate d0 lower and *= bpe into Cin addr
v_cndmask_b32 v179, -1, v179, s[56:57]             // LDC clip if OOB. offset
_buffer_load_b32 v180, v179, s[sgprSrdC:sgprSrdC+3], 0, offen offset:0,  glc slc // load C for beta calc
_v_add_lshl_u32 v179, v131, v128, 0x2              // scaleToBpe: accumulate d0 lower and *= bpe into Cin addr
v_cndmask_b32 v179, -1, v179, s[56:57]             // LDD clip if OOB. offset
/* (d1,vc1,d0,vc0)=(1,3,1,0) */
s_mov_b32 s52, 128                                 // coordOffset0 d0=1 vc0=0
_v_add_co_u32 v132, vcc, v128, s52                 // coord0.2: coord0 += d0*sg0*VW + vc0
v_cmp_lt_u32 s[52:53], v132, s[sgprSizeI]          // coord0 < size0
v_cmp_lt_u32 s[56:57], v129, s[sgprSizeJ]          // coord1 < size1
s_and_b64 s[56:57], s[52:53], s[56:57]             // in0 && in1
_v_add_lshl_u32 v182, v130, v132, 0x2              // scaleToBpe: accumulate d0 lower and *= bpe into Cin addr
v_cndmask_b32 v182, -1, v182, s[56:57]             // LDC clip if OOB. offset
_buffer_load_b32 v183, v182, s[sgprSrdC:sgprSrdC+3], 0, offen offset:0,  glc slc // load C for beta calc
_v_add_lshl_u32 v182, v131, v132, 0x2              // scaleToBpe: accumulate d0 lower and *= bpe into Cin addr
v_cndmask_b32 v182, -1, v182, s[56:57]             // LDD clip if OOB. offset
/* (d1,vc1,d0,vc0)=(2,0,0,0) */
_v_add_co_u32 v129, vcc, v129, 5                   // coord1.1: coord1Vgpr += d1*sg1*VW + vc1

/* Fix for UseInitialStridesCD, emitAddressSetupCode */
s_mul_i32 s52, s[sgprStrideC1J], 5                 // scale stride
_v_add_u32 v130, v130, s52                         // ROWINC- Move cinRowPtr to next row
s_mul_i32 s52, s[sgprStrideD1J], 5                 // scale stride
_v_add_u32 v131, v131, s52                         // Move coutRowPtr to next row
v_cmp_lt_u32 s[52:53], v128, s[sgprSizeI]          // coord0 < size0
v_cmp_lt_u32 s[56:57], v129, s[sgprSizeJ]          // coord1 < size1
s_and_b64 s[56:57], s[52:53], s[56:57]             // in0 && in1
_v_add_lshl_u32 v185, v130, v128, 0x2              // scaleToBpe: accumulate d0 lower and *= bpe into Cin addr
v_cndmask_b32 v185, -1, v185, s[56:57]             // LDC clip if OOB. offset
_buffer_load_b32 v186, v185, s[sgprSrdC:sgprSrdC+3], 0, offen offset:0,  glc slc // load C for beta calc
_v_add_lshl_u32 v185, v131, v128, 0x2              // scaleToBpe: accumulate d0 lower and *= bpe into Cin addr
v_cndmask_b32 v185, -1, v185, s[56:57]             // LDD clip if OOB. offset
/* (d1,vc1,d0,vc0)=(2,0,1,0) */
s_mov_b32 s52, 128                                 // coordOffset0 d0=1 vc0=0
_v_add_co_u32 v132, vcc, v128, s52                 // coord0.2: coord0 += d0*sg0*VW + vc0
v_cmp_lt_u32 s[52:53], v132, s[sgprSizeI]          // coord0 < size0
v_cmp_lt_u32 s[56:57], v129, s[sgprSizeJ]          // coord1 < size1
s_and_b64 s[56:57], s[52:53], s[56:57]             // in0 && in1
_v_add_lshl_u32 v188, v130, v132, 0x2              // scaleToBpe: accumulate d0 lower and *= bpe into Cin addr
v_cndmask_b32 v188, -1, v188, s[56:57]             // LDC clip if OOB. offset
_buffer_load_b32 v189, v188, s[sgprSrdC:sgprSrdC+3], 0, offen offset:0,  glc slc // load C for beta calc
_v_add_lshl_u32 v188, v131, v132, 0x2              // scaleToBpe: accumulate d0 lower and *= bpe into Cin addr
v_cndmask_b32 v188, -1, v188, s[56:57]             // LDD clip if OOB. offset
/* (d1,vc1,d0,vc0)=(2,1,0,0) */
_v_add_co_u32 v129, vcc, v129, 1                   // coord1.1: coord1Vgpr += d1*sg1*VW + vc1

/* Fix for UseInitialStridesCD, emitAddressSetupCode */
_v_add_u32 v130, v130, s[sgprStrideC1J]            // ROWINC- Move cinRowPtr to next row
_v_add_u32 v131, v131, s[sgprStrideD1J]            // Move coutRowPtr to next row
v_cmp_lt_u32 s[52:53], v128, s[sgprSizeI]          // coord0 < size0
v_cmp_lt_u32 s[56:57], v129, s[sgprSizeJ]          // coord1 < size1
s_and_b64 s[56:57], s[52:53], s[56:57]             // in0 && in1
_v_add_lshl_u32 v191, v130, v128, 0x2              // scaleToBpe: accumulate d0 lower and *= bpe into Cin addr
v_cndmask_b32 v191, -1, v191, s[56:57]             // LDC clip if OOB. offset
_buffer_load_b32 v192, v191, s[sgprSrdC:sgprSrdC+3], 0, offen offset:0,  glc slc // load C for beta calc
_v_add_lshl_u32 v191, v131, v128, 0x2              // scaleToBpe: accumulate d0 lower and *= bpe into Cin addr
v_cndmask_b32 v191, -1, v191, s[56:57]             // LDD clip if OOB. offset
/* (d1,vc1,d0,vc0)=(2,1,1,0) */
s_mov_b32 s52, 128                                 // coordOffset0 d0=1 vc0=0
_v_add_co_u32 v132, vcc, v128, s52                 // coord0.2: coord0 += d0*sg0*VW + vc0
v_cmp_lt_u32 s[52:53], v132, s[sgprSizeI]          // coord0 < size0
v_cmp_lt_u32 s[56:57], v129, s[sgprSizeJ]          // coord1 < size1
s_and_b64 s[56:57], s[52:53], s[56:57]             // in0 && in1
_v_add_lshl_u32 v194, v130, v132, 0x2              // scaleToBpe: accumulate d0 lower and *= bpe into Cin addr
v_cndmask_b32 v194, -1, v194, s[56:57]             // LDC clip if OOB. offset
_buffer_load_b32 v195, v194, s[sgprSrdC:sgprSrdC+3], 0, offen offset:0,  glc slc // load C for beta calc
_v_add_lshl_u32 v194, v131, v132, 0x2              // scaleToBpe: accumulate d0 lower and *= bpe into Cin addr
v_cndmask_b32 v194, -1, v194, s[56:57]             // LDD clip if OOB. offset
/* (d1,vc1,d0,vc0)=(2,2,0,0) */
_v_add_co_u32 v129, vcc, v129, 1                   // coord1.1: coord1Vgpr += d1*sg1*VW + vc1

/* Fix for UseInitialStridesCD, emitAddressSetupCode */
_v_add_u32 v130, v130, s[sgprStrideC1J]            // ROWINC- Move cinRowPtr to next row
_v_add_u32 v131, v131, s[sgprStrideD1J]            // Move coutRowPtr to next row
v_cmp_lt_u32 s[52:53], v128, s[sgprSizeI]          // coord0 < size0
v_cmp_lt_u32 s[56:57], v129, s[sgprSizeJ]          // coord1 < size1
s_and_b64 s[56:57], s[52:53], s[56:57]             // in0 && in1
_v_add_lshl_u32 v197, v130, v128, 0x2              // scaleToBpe: accumulate d0 lower and *= bpe into Cin addr
v_cndmask_b32 v197, -1, v197, s[56:57]             // LDC clip if OOB. offset
_buffer_load_b32 v198, v197, s[sgprSrdC:sgprSrdC+3], 0, offen offset:0,  glc slc // load C for beta calc
_v_add_lshl_u32 v197, v131, v128, 0x2              // scaleToBpe: accumulate d0 lower and *= bpe into Cin addr
v_cndmask_b32 v197, -1, v197, s[56:57]             // LDD clip if OOB. offset
/* (d1,vc1,d0,vc0)=(2,2,1,0) */
s_mov_b32 s52, 128                                 // coordOffset0 d0=1 vc0=0
_v_add_co_u32 v132, vcc, v128, s52                 // coord0.2: coord0 += d0*sg0*VW + vc0
v_cmp_lt_u32 s[52:53], v132, s[sgprSizeI]          // coord0 < size0
v_cmp_lt_u32 s[56:57], v129, s[sgprSizeJ]          // coord1 < size1
s_and_b64 s[56:57], s[52:53], s[56:57]             // in0 && in1
_v_add_lshl_u32 v200, v130, v132, 0x2              // scaleToBpe: accumulate d0 lower and *= bpe into Cin addr
v_cndmask_b32 v200, -1, v200, s[56:57]             // LDC clip if OOB. offset
_buffer_load_b32 v201, v200, s[sgprSrdC:sgprSrdC+3], 0, offen offset:0,  glc slc // load C for beta calc
_v_add_lshl_u32 v200, v131, v132, 0x2              // scaleToBpe: accumulate d0 lower and *= bpe into Cin addr
v_cndmask_b32 v200, -1, v200, s[56:57]             // LDD clip if OOB. offset
/* (d1,vc1,d0,vc0)=(2,3,0,0) */
_v_add_co_u32 v129, vcc, v129, 1                   // coord1.1: coord1Vgpr += d1*sg1*VW + vc1

/* Fix for UseInitialStridesCD, emitAddressSetupCode */
_v_add_u32 v130, v130, s[sgprStrideC1J]            // ROWINC- Move cinRowPtr to next row
_v_add_u32 v131, v131, s[sgprStrideD1J]            // Move coutRowPtr to next row
v_cmp_lt_u32 s[52:53], v128, s[sgprSizeI]          // coord0 < size0
v_cmp_lt_u32 s[56:57], v129, s[sgprSizeJ]          // coord1 < size1
s_and_b64 s[56:57], s[52:53], s[56:57]             // in0 && in1
_v_add_lshl_u32 v203, v130, v128, 0x2              // scaleToBpe: accumulate d0 lower and *= bpe into Cin addr
v_cndmask_b32 v203, -1, v203, s[56:57]             // LDC clip if OOB. offset
_buffer_load_b32 v204, v203, s[sgprSrdC:sgprSrdC+3], 0, offen offset:0,  glc slc // load C for beta calc
_v_add_lshl_u32 v203, v131, v128, 0x2              // scaleToBpe: accumulate d0 lower and *= bpe into Cin addr
v_cndmask_b32 v203, -1, v203, s[56:57]             // LDD clip if OOB. offset
/* (d1,vc1,d0,vc0)=(2,3,1,0) */
s_mov_b32 s52, 128                                 // coordOffset0 d0=1 vc0=0
_v_add_co_u32 v132, vcc, v128, s52                 // coord0.2: coord0 += d0*sg0*VW + vc0
v_cmp_lt_u32 s[52:53], v132, s[sgprSizeI]          // coord0 < size0
v_cmp_lt_u32 s[56:57], v129, s[sgprSizeJ]          // coord1 < size1
s_and_b64 s[56:57], s[52:53], s[56:57]             // in0 && in1
_v_add_lshl_u32 v206, v130, v132, 0x2              // scaleToBpe: accumulate d0 lower and *= bpe into Cin addr
v_cndmask_b32 v206, -1, v206, s[56:57]             // LDC clip if OOB. offset
_buffer_load_b32 v207, v206, s[sgprSrdC:sgprSrdC+3], 0, offen offset:0,  glc slc // load C for beta calc
_v_add_lshl_u32 v206, v131, v132, 0x2              // scaleToBpe: accumulate d0 lower and *= bpe into Cin addr
v_cndmask_b32 v206, -1, v206, s[56:57]             // LDD clip if OOB. offset
/* (d1,vc1,d0,vc0)=(3,0,0,0) */
_v_add_co_u32 v129, vcc, v129, 5                   // coord1.1: coord1Vgpr += d1*sg1*VW + vc1

/* Fix for UseInitialStridesCD, emitAddressSetupCode */
s_mul_i32 s52, s[sgprStrideC1J], 5                 // scale stride
_v_add_u32 v130, v130, s52                         // ROWINC- Move cinRowPtr to next row
s_mul_i32 s52, s[sgprStrideD1J], 5                 // scale stride
_v_add_u32 v131, v131, s52                         // Move coutRowPtr to next row
v_cmp_lt_u32 s[52:53], v128, s[sgprSizeI]          // coord0 < size0
v_cmp_lt_u32 s[56:57], v129, s[sgprSizeJ]          // coord1 < size1
s_and_b64 s[56:57], s[52:53], s[56:57]             // in0 && in1
_v_add_lshl_u32 v209, v130, v128, 0x2              // scaleToBpe: accumulate d0 lower and *= bpe into Cin addr
v_cndmask_b32 v209, -1, v209, s[56:57]             // LDC clip if OOB. offset
_buffer_load_b32 v210, v209, s[sgprSrdC:sgprSrdC+3], 0, offen offset:0,  glc slc // load C for beta calc
_v_add_lshl_u32 v209, v131, v128, 0x2              // scaleToBpe: accumulate d0 lower and *= bpe into Cin addr
v_cndmask_b32 v209, -1, v209, s[56:57]             // LDD clip if OOB. offset
/* (d1,vc1,d0,vc0)=(3,0,1,0) */
s_mov_b32 s52, 128                                 // coordOffset0 d0=1 vc0=0
_v_add_co_u32 v132, vcc, v128, s52                 // coord0.2: coord0 += d0*sg0*VW + vc0
v_cmp_lt_u32 s[52:53], v132, s[sgprSizeI]          // coord0 < size0
v_cmp_lt_u32 s[56:57], v129, s[sgprSizeJ]          // coord1 < size1
s_and_b64 s[56:57], s[52:53], s[56:57]             // in0 && in1
_v_add_lshl_u32 v212, v130, v132, 0x2              // scaleToBpe: accumulate d0 lower and *= bpe into Cin addr
v_cndmask_b32 v212, -1, v212, s[56:57]             // LDC clip if OOB. offset
_buffer_load_b32 v213, v212, s[sgprSrdC:sgprSrdC+3], 0, offen offset:0,  glc slc // load C for beta calc
_v_add_lshl_u32 v212, v131, v132, 0x2              // scaleToBpe: accumulate d0 lower and *= bpe into Cin addr
v_cndmask_b32 v212, -1, v212, s[56:57]             // LDD clip if OOB. offset
/* (d1,vc1,d0,vc0)=(3,1,0,0) */
_v_add_co_u32 v129, vcc, v129, 1                   // coord1.1: coord1Vgpr += d1*sg1*VW + vc1

/* Fix for UseInitialStridesCD, emitAddressSetupCode */
_v_add_u32 v130, v130, s[sgprStrideC1J]            // ROWINC- Move cinRowPtr to next row
_v_add_u32 v131, v131, s[sgprStrideD1J]            // Move coutRowPtr to next row
v_cmp_lt_u32 s[52:53], v128, s[sgprSizeI]          // coord0 < size0
v_cmp_lt_u32 s[56:57], v129, s[sgprSizeJ]          // coord1 < size1
s_and_b64 s[56:57], s[52:53], s[56:57]             // in0 && in1
_v_add_lshl_u32 v215, v130, v128, 0x2              // scaleToBpe: accumulate d0 lower and *= bpe into Cin addr
v_cndmask_b32 v215, -1, v215, s[56:57]             // LDC clip if OOB. offset
_buffer_load_b32 v216, v215, s[sgprSrdC:sgprSrdC+3], 0, offen offset:0,  glc slc // load C for beta calc
_v_add_lshl_u32 v215, v131, v128, 0x2              // scaleToBpe: accumulate d0 lower and *= bpe into Cin addr
v_cndmask_b32 v215, -1, v215, s[56:57]             // LDD clip if OOB. offset
/* (d1,vc1,d0,vc0)=(3,1,1,0) */
s_mov_b32 s52, 128                                 // coordOffset0 d0=1 vc0=0
_v_add_co_u32 v132, vcc, v128, s52                 // coord0.2: coord0 += d0*sg0*VW + vc0
v_cmp_lt_u32 s[52:53], v132, s[sgprSizeI]          // coord0 < size0
v_cmp_lt_u32 s[56:57], v129, s[sgprSizeJ]          // coord1 < size1
s_and_b64 s[56:57], s[52:53], s[56:57]             // in0 && in1
_v_add_lshl_u32 v218, v130, v132, 0x2              // scaleToBpe: accumulate d0 lower and *= bpe into Cin addr
v_cndmask_b32 v218, -1, v218, s[56:57]             // LDC clip if OOB. offset
_buffer_load_b32 v219, v218, s[sgprSrdC:sgprSrdC+3], 0, offen offset:0,  glc slc // load C for beta calc
_v_add_lshl_u32 v218, v131, v132, 0x2              // scaleToBpe: accumulate d0 lower and *= bpe into Cin addr
v_cndmask_b32 v218, -1, v218, s[56:57]             // LDD clip if OOB. offset
/* (d1,vc1,d0,vc0)=(3,2,0,0) */
_v_add_co_u32 v129, vcc, v129, 1                   // coord1.1: coord1Vgpr += d1*sg1*VW + vc1

/* Fix for UseInitialStridesCD, emitAddressSetupCode */
_v_add_u32 v130, v130, s[sgprStrideC1J]            // ROWINC- Move cinRowPtr to next row
_v_add_u32 v131, v131, s[sgprStrideD1J]            // Move coutRowPtr to next row
	;; [unrolled: 25-line block ×3, first 2 shown]
v_cmp_lt_u32 s[52:53], v128, s[sgprSizeI]          // coord0 < size0
v_cmp_lt_u32 s[56:57], v129, s[sgprSizeJ]          // coord1 < size1
s_and_b64 s[56:57], s[52:53], s[56:57]             // in0 && in1
_v_add_lshl_u32 v227, v130, v128, 0x2              // scaleToBpe: accumulate d0 lower and *= bpe into Cin addr
v_cndmask_b32 v227, -1, v227, s[56:57]             // LDC clip if OOB. offset
_buffer_load_b32 v228, v227, s[sgprSrdC:sgprSrdC+3], 0, offen offset:0,  glc slc // load C for beta calc
_v_add_lshl_u32 v227, v131, v128, 0x2              // scaleToBpe: accumulate d0 lower and *= bpe into Cin addr
v_cndmask_b32 v227, -1, v227, s[56:57]             // LDD clip if OOB. offset
/* (d1,vc1,d0,vc0)=(3,3,1,0) */
s_mov_b32 s52, 128                                 // coordOffset0 d0=1 vc0=0
_v_add_co_u32 v132, vcc, v128, s52                 // coord0.2: coord0 += d0*sg0*VW + vc0
v_cmp_lt_u32 s[52:53], v132, s[sgprSizeI]          // coord0 < size0
v_cmp_lt_u32 s[56:57], v129, s[sgprSizeJ]          // coord1 < size1
s_and_b64 s[56:57], s[52:53], s[56:57]             // in0 && in1
_v_add_lshl_u32 v230, v130, v132, 0x2              // scaleToBpe: accumulate d0 lower and *= bpe into Cin addr
v_cndmask_b32 v230, -1, v230, s[56:57]             // LDC clip if OOB. offset
_buffer_load_b32 v231, v230, s[sgprSrdC:sgprSrdC+3], 0, offen offset:0,  glc slc // load C for beta calc
_v_add_lshl_u32 v230, v131, v132, 0x2              // scaleToBpe: accumulate d0 lower and *= bpe into Cin addr
v_cndmask_b32 v230, -1, v230, s[56:57]             // LDD clip if OOB. offset
/* (d1,vc1,d0,vc0)=(4,0,0,0) */
_v_add_co_u32 v129, vcc, v129, 5                   // coord1.1: coord1Vgpr += d1*sg1*VW + vc1

/* Fix for UseInitialStridesCD, emitAddressSetupCode */
s_mul_i32 s52, s[sgprStrideC1J], 5                 // scale stride
_v_add_u32 v130, v130, s52                         // ROWINC- Move cinRowPtr to next row
s_mul_i32 s52, s[sgprStrideD1J], 5                 // scale stride
_v_add_u32 v131, v131, s52                         // Move coutRowPtr to next row
v_cmp_lt_u32 s[52:53], v128, s[sgprSizeI]          // coord0 < size0
v_cmp_lt_u32 s[56:57], v129, s[sgprSizeJ]          // coord1 < size1
s_and_b64 s[56:57], s[52:53], s[56:57]             // in0 && in1
_v_add_lshl_u32 v233, v130, v128, 0x2              // scaleToBpe: accumulate d0 lower and *= bpe into Cin addr
v_cndmask_b32 v233, -1, v233, s[56:57]             // LDC clip if OOB. offset
_buffer_load_b32 v234, v233, s[sgprSrdC:sgprSrdC+3], 0, offen offset:0,  glc slc // load C for beta calc
_v_add_lshl_u32 v233, v131, v128, 0x2              // scaleToBpe: accumulate d0 lower and *= bpe into Cin addr
v_cndmask_b32 v233, -1, v233, s[56:57]             // LDD clip if OOB. offset
/* (d1,vc1,d0,vc0)=(4,0,1,0) */
s_mov_b32 s52, 128                                 // coordOffset0 d0=1 vc0=0
_v_add_co_u32 v132, vcc, v128, s52                 // coord0.2: coord0 += d0*sg0*VW + vc0
v_cmp_lt_u32 s[52:53], v132, s[sgprSizeI]          // coord0 < size0
v_cmp_lt_u32 s[56:57], v129, s[sgprSizeJ]          // coord1 < size1
s_and_b64 s[56:57], s[52:53], s[56:57]             // in0 && in1
_v_add_lshl_u32 v236, v130, v132, 0x2              // scaleToBpe: accumulate d0 lower and *= bpe into Cin addr
v_cndmask_b32 v236, -1, v236, s[56:57]             // LDC clip if OOB. offset
_buffer_load_b32 v237, v236, s[sgprSrdC:sgprSrdC+3], 0, offen offset:0,  glc slc // load C for beta calc
_v_add_lshl_u32 v236, v131, v132, 0x2              // scaleToBpe: accumulate d0 lower and *= bpe into Cin addr
v_cndmask_b32 v236, -1, v236, s[56:57]             // LDD clip if OOB. offset
/* (d1,vc1,d0,vc0)=(4,1,0,0) */
_v_add_co_u32 v129, vcc, v129, 1                   // coord1.1: coord1Vgpr += d1*sg1*VW + vc1

/* Fix for UseInitialStridesCD, emitAddressSetupCode */
_v_add_u32 v130, v130, s[sgprStrideC1J]            // ROWINC- Move cinRowPtr to next row
_v_add_u32 v131, v131, s[sgprStrideD1J]            // Move coutRowPtr to next row
v_cmp_lt_u32 s[52:53], v128, s[sgprSizeI]          // coord0 < size0
v_cmp_lt_u32 s[56:57], v129, s[sgprSizeJ]          // coord1 < size1
s_and_b64 s[56:57], s[52:53], s[56:57]             // in0 && in1
_v_add_lshl_u32 v239, v130, v128, 0x2              // scaleToBpe: accumulate d0 lower and *= bpe into Cin addr
v_cndmask_b32 v239, -1, v239, s[56:57]             // LDC clip if OOB. offset
_buffer_load_b32 v240, v239, s[sgprSrdC:sgprSrdC+3], 0, offen offset:0,  glc slc // load C for beta calc
_v_add_lshl_u32 v239, v131, v128, 0x2              // scaleToBpe: accumulate d0 lower and *= bpe into Cin addr
v_cndmask_b32 v239, -1, v239, s[56:57]             // LDD clip if OOB. offset
/* (d1,vc1,d0,vc0)=(4,1,1,0) */
s_mov_b32 s52, 128                                 // coordOffset0 d0=1 vc0=0
_v_add_co_u32 v132, vcc, v128, s52                 // coord0.2: coord0 += d0*sg0*VW + vc0
v_cmp_lt_u32 s[52:53], v132, s[sgprSizeI]          // coord0 < size0
v_cmp_lt_u32 s[56:57], v129, s[sgprSizeJ]          // coord1 < size1
s_and_b64 s[56:57], s[52:53], s[56:57]             // in0 && in1
_v_add_lshl_u32 v242, v130, v132, 0x2              // scaleToBpe: accumulate d0 lower and *= bpe into Cin addr
v_cndmask_b32 v242, -1, v242, s[56:57]             // LDC clip if OOB. offset
_buffer_load_b32 v243, v242, s[sgprSrdC:sgprSrdC+3], 0, offen offset:0,  glc slc // load C for beta calc
_v_add_lshl_u32 v242, v131, v132, 0x2              // scaleToBpe: accumulate d0 lower and *= bpe into Cin addr
v_cndmask_b32 v242, -1, v242, s[56:57]             // LDD clip if OOB. offset
/* (d1,vc1,d0,vc0)=(4,2,0,0) */
_v_add_co_u32 v129, vcc, v129, 1                   // coord1.1: coord1Vgpr += d1*sg1*VW + vc1

/* Fix for UseInitialStridesCD, emitAddressSetupCode */
_v_add_u32 v130, v130, s[sgprStrideC1J]            // ROWINC- Move cinRowPtr to next row
_v_add_u32 v131, v131, s[sgprStrideD1J]            // Move coutRowPtr to next row
v_cmp_lt_u32 s[52:53], v128, s[sgprSizeI]          // coord0 < size0
v_cmp_lt_u32 s[56:57], v129, s[sgprSizeJ]          // coord1 < size1
s_and_b64 s[56:57], s[52:53], s[56:57]             // in0 && in1
_v_add_lshl_u32 v245, v130, v128, 0x2              // scaleToBpe: accumulate d0 lower and *= bpe into Cin addr
v_cndmask_b32 v245, -1, v245, s[56:57]             // LDC clip if OOB. offset
_buffer_load_b32 v246, v245, s[sgprSrdC:sgprSrdC+3], 0, offen offset:0,  glc slc // load C for beta calc
_v_add_lshl_u32 v245, v131, v128, 0x2              // scaleToBpe: accumulate d0 lower and *= bpe into Cin addr
v_cndmask_b32 v245, -1, v245, s[56:57]             // LDD clip if OOB. offset
/* (d1,vc1,d0,vc0)=(4,2,1,0) */
s_mov_b32 s52, 128                                 // coordOffset0 d0=1 vc0=0
_v_add_co_u32 v132, vcc, v128, s52                 // coord0.2: coord0 += d0*sg0*VW + vc0
v_cmp_lt_u32 s[52:53], v132, s[sgprSizeI]          // coord0 < size0
v_cmp_lt_u32 s[56:57], v129, s[sgprSizeJ]          // coord1 < size1
s_and_b64 s[56:57], s[52:53], s[56:57]             // in0 && in1
_v_add_lshl_u32 v248, v130, v132, 0x2              // scaleToBpe: accumulate d0 lower and *= bpe into Cin addr
v_cndmask_b32 v248, -1, v248, s[56:57]             // LDC clip if OOB. offset
_buffer_load_b32 v249, v248, s[sgprSrdC:sgprSrdC+3], 0, offen offset:0,  glc slc // load C for beta calc
_v_add_lshl_u32 v248, v131, v132, 0x2              // scaleToBpe: accumulate d0 lower and *= bpe into Cin addr
v_cndmask_b32 v248, -1, v248, s[56:57]             // LDD clip if OOB. offset
s_sleep 1 // optimization: sync and wait
s_barrier
s_waitcnt vmcnt(0)                                 // wait C

/* apply mask, calc new C and issue writes */
_v_mac_f32 v[vgprValuC+136], v135, s[sgprBeta]     // finalSum = sum*alpha + C*beta
_buffer_store_b32 v136, v134, s[sgprSrdD:sgprSrdD+3], 0, offen, offset:0,  glc slc // store D
_v_mac_f32 v[vgprValuC+139], v138, s[sgprBeta]     // finalSum = sum*alpha + C*beta
_buffer_store_b32 v139, v137, s[sgprSrdD:sgprSrdD+3], 0, offen, offset:0,  glc slc // store D
	;; [unrolled: 2-line block ×38, first 2 shown]
s_nop 0                                            // 1 wait state required when next inst writes vgprs held by previous dwordx4 store inst
/* optSingleColVgpr=0 optSharedColVgpr=0 optSGPRUsage=BufferLoad_Edge_Mask optSrdIncForRow=0 */
s_sleep 1 // optimization: sync and wait
s_barrier

/******************************************/
/* Global Write Alpha Beta Edge Batch #1 (d1,d0,vc1,vc0) = */
/*    (4,0,3,0:vw1); (4,1,3,0:vw1); (5,0,0,0:vw1); (5,1,0,0:vw1); (5,0,1,0:vw1); (5,1,1,0:vw1); (5,0,2,0:vw1); (5,1,2,0:vw1); (5,0,3,0:vw1); (5,1,3,0:vw1); (6,0,0,0:vw1); (6,1,0,0:vw1); (6,0,1,0:vw1); (6,1,1,0:vw1); (6,0,2,0:vw1); (6,1,2,0:vw1); (6,0,3,0:vw1); (6,1,3,0:vw1); (7,0,0,0:vw1); (7,1,0,0:vw1); (7,0,1,0:vw1); (7,1,1,0:vw1); (7,0,2,0:vw1); (7,1,2,0:vw1); (7,0,3,0:vw1); (7,1,3,0:vw1); (8,0,0,0:vw1); (8,1,0,0:vw1); (8,0,1,0:vw1); (8,1,1,0:vw1); (8,0,2,0:vw1); (8,1,2,0:vw1); (8,0,3,0:vw1); (8,1,3,0:vw1); (9,0,0,0:vw1); (9,1,0,0:vw1); (9,0,1,0:vw1); (9,1,1,0:vw1) */
/******************************************/

/* calc coords, apply mask, and issue loads (if necessary) */

/* rC *= alpha batchElements=[(4, 0, 3, 0), (4, 1, 3, 0), (5, 0, 0, 0), (5, 1, 0, 0), (5, 0, 1, 0), (5, 1, 1, 0), (5, 0, 2, 0), (5, 1, 2, 0), (5, 0, 3, 0), (5, 1, 3, 0), (6, 0, 0, 0), (6, 1, 0, 0), (6, 0, 1, 0), (6, 1, 1, 0), (6, 0, 2, 0), (6, 1, 2, 0), (6, 0, 3, 0), (6, 1, 3, 0), (7, 0, 0, 0), (7, 1, 0, 0), (7, 0, 1, 0), (7, 1, 1, 0), (7, 0, 2, 0), (7, 1, 2, 0), (7, 0, 3, 0), (7, 1, 3, 0), (8, 0, 0, 0), (8, 1, 0, 0), (8, 0, 1, 0), (8, 1, 1, 0), (8, 0, 2, 0), (8, 1, 2, 0), (8, 0, 3, 0), (8, 1, 3, 0), (9, 0, 0, 0), (9, 1, 0, 0), (9, 0, 1, 0), (9, 1, 1, 0)] */
v_mul_f32 v[vgprValuC+136], s[sgprAlpha], v[vgprValuC+35] // Multiply MI out reg with alpha
v_mul_f32 v[vgprValuC+139], s[sgprAlpha], v[vgprValuC+51] // Multiply MI out reg with alpha
	;; [unrolled: 1-line block ×38, first 2 shown]
/* (d1,vc1,d0,vc0)=(4,3,0,0) */
_v_add_co_u32 v129, vcc, v129, 1                   // coord1.1: coord1Vgpr += d1*sg1*VW + vc1

/* Fix for UseInitialStridesCD, emitAddressSetupCode */
_v_add_u32 v130, v130, s[sgprStrideC1J]            // ROWINC- Move cinRowPtr to next row
_v_add_u32 v131, v131, s[sgprStrideD1J]            // Move coutRowPtr to next row
v_cmp_lt_u32 s[52:53], v128, s[sgprSizeI]          // coord0 < size0
v_cmp_lt_u32 s[56:57], v129, s[sgprSizeJ]          // coord1 < size1
s_and_b64 s[56:57], s[52:53], s[56:57]             // in0 && in1
_v_add_lshl_u32 v134, v130, v128, 0x2              // scaleToBpe: accumulate d0 lower and *= bpe into Cin addr
v_cndmask_b32 v134, -1, v134, s[56:57]             // LDC clip if OOB. offset
_buffer_load_b32 v135, v134, s[sgprSrdC:sgprSrdC+3], 0, offen offset:0,  glc slc // load C for beta calc
_v_add_lshl_u32 v134, v131, v128, 0x2              // scaleToBpe: accumulate d0 lower and *= bpe into Cin addr
v_cndmask_b32 v134, -1, v134, s[56:57]             // LDD clip if OOB. offset
/* (d1,vc1,d0,vc0)=(4,3,1,0) */
s_mov_b32 s52, 128                                 // coordOffset0 d0=1 vc0=0
_v_add_co_u32 v132, vcc, v128, s52                 // coord0.2: coord0 += d0*sg0*VW + vc0
v_cmp_lt_u32 s[52:53], v132, s[sgprSizeI]          // coord0 < size0
v_cmp_lt_u32 s[56:57], v129, s[sgprSizeJ]          // coord1 < size1
s_and_b64 s[56:57], s[52:53], s[56:57]             // in0 && in1
_v_add_lshl_u32 v137, v130, v132, 0x2              // scaleToBpe: accumulate d0 lower and *= bpe into Cin addr
v_cndmask_b32 v137, -1, v137, s[56:57]             // LDC clip if OOB. offset
_buffer_load_b32 v138, v137, s[sgprSrdC:sgprSrdC+3], 0, offen offset:0,  glc slc // load C for beta calc
_v_add_lshl_u32 v137, v131, v132, 0x2              // scaleToBpe: accumulate d0 lower and *= bpe into Cin addr
v_cndmask_b32 v137, -1, v137, s[56:57]             // LDD clip if OOB. offset
/* (d1,vc1,d0,vc0)=(5,0,0,0) */
_v_add_co_u32 v129, vcc, v129, 5                   // coord1.1: coord1Vgpr += d1*sg1*VW + vc1

/* Fix for UseInitialStridesCD, emitAddressSetupCode */
s_mul_i32 s52, s[sgprStrideC1J], 5                 // scale stride
_v_add_u32 v130, v130, s52                         // ROWINC- Move cinRowPtr to next row
s_mul_i32 s52, s[sgprStrideD1J], 5                 // scale stride
_v_add_u32 v131, v131, s52                         // Move coutRowPtr to next row
v_cmp_lt_u32 s[52:53], v128, s[sgprSizeI]          // coord0 < size0
v_cmp_lt_u32 s[56:57], v129, s[sgprSizeJ]          // coord1 < size1
s_and_b64 s[56:57], s[52:53], s[56:57]             // in0 && in1
_v_add_lshl_u32 v140, v130, v128, 0x2              // scaleToBpe: accumulate d0 lower and *= bpe into Cin addr
v_cndmask_b32 v140, -1, v140, s[56:57]             // LDC clip if OOB. offset
_buffer_load_b32 v141, v140, s[sgprSrdC:sgprSrdC+3], 0, offen offset:0,  glc slc // load C for beta calc
_v_add_lshl_u32 v140, v131, v128, 0x2              // scaleToBpe: accumulate d0 lower and *= bpe into Cin addr
v_cndmask_b32 v140, -1, v140, s[56:57]             // LDD clip if OOB. offset
/* (d1,vc1,d0,vc0)=(5,0,1,0) */
s_mov_b32 s52, 128                                 // coordOffset0 d0=1 vc0=0
_v_add_co_u32 v132, vcc, v128, s52                 // coord0.2: coord0 += d0*sg0*VW + vc0
v_cmp_lt_u32 s[52:53], v132, s[sgprSizeI]          // coord0 < size0
v_cmp_lt_u32 s[56:57], v129, s[sgprSizeJ]          // coord1 < size1
s_and_b64 s[56:57], s[52:53], s[56:57]             // in0 && in1
_v_add_lshl_u32 v143, v130, v132, 0x2              // scaleToBpe: accumulate d0 lower and *= bpe into Cin addr
v_cndmask_b32 v143, -1, v143, s[56:57]             // LDC clip if OOB. offset
_buffer_load_b32 v144, v143, s[sgprSrdC:sgprSrdC+3], 0, offen offset:0,  glc slc // load C for beta calc
_v_add_lshl_u32 v143, v131, v132, 0x2              // scaleToBpe: accumulate d0 lower and *= bpe into Cin addr
v_cndmask_b32 v143, -1, v143, s[56:57]             // LDD clip if OOB. offset
/* (d1,vc1,d0,vc0)=(5,1,0,0) */
_v_add_co_u32 v129, vcc, v129, 1                   // coord1.1: coord1Vgpr += d1*sg1*VW + vc1

/* Fix for UseInitialStridesCD, emitAddressSetupCode */
_v_add_u32 v130, v130, s[sgprStrideC1J]            // ROWINC- Move cinRowPtr to next row
_v_add_u32 v131, v131, s[sgprStrideD1J]            // Move coutRowPtr to next row
v_cmp_lt_u32 s[52:53], v128, s[sgprSizeI]          // coord0 < size0
v_cmp_lt_u32 s[56:57], v129, s[sgprSizeJ]          // coord1 < size1
s_and_b64 s[56:57], s[52:53], s[56:57]             // in0 && in1
_v_add_lshl_u32 v146, v130, v128, 0x2              // scaleToBpe: accumulate d0 lower and *= bpe into Cin addr
v_cndmask_b32 v146, -1, v146, s[56:57]             // LDC clip if OOB. offset
_buffer_load_b32 v147, v146, s[sgprSrdC:sgprSrdC+3], 0, offen offset:0,  glc slc // load C for beta calc
_v_add_lshl_u32 v146, v131, v128, 0x2              // scaleToBpe: accumulate d0 lower and *= bpe into Cin addr
v_cndmask_b32 v146, -1, v146, s[56:57]             // LDD clip if OOB. offset
/* (d1,vc1,d0,vc0)=(5,1,1,0) */
s_mov_b32 s52, 128                                 // coordOffset0 d0=1 vc0=0
_v_add_co_u32 v132, vcc, v128, s52                 // coord0.2: coord0 += d0*sg0*VW + vc0
v_cmp_lt_u32 s[52:53], v132, s[sgprSizeI]          // coord0 < size0
v_cmp_lt_u32 s[56:57], v129, s[sgprSizeJ]          // coord1 < size1
s_and_b64 s[56:57], s[52:53], s[56:57]             // in0 && in1
_v_add_lshl_u32 v149, v130, v132, 0x2              // scaleToBpe: accumulate d0 lower and *= bpe into Cin addr
v_cndmask_b32 v149, -1, v149, s[56:57]             // LDC clip if OOB. offset
_buffer_load_b32 v150, v149, s[sgprSrdC:sgprSrdC+3], 0, offen offset:0,  glc slc // load C for beta calc
_v_add_lshl_u32 v149, v131, v132, 0x2              // scaleToBpe: accumulate d0 lower and *= bpe into Cin addr
v_cndmask_b32 v149, -1, v149, s[56:57]             // LDD clip if OOB. offset
/* (d1,vc1,d0,vc0)=(5,2,0,0) */
_v_add_co_u32 v129, vcc, v129, 1                   // coord1.1: coord1Vgpr += d1*sg1*VW + vc1

/* Fix for UseInitialStridesCD, emitAddressSetupCode */
_v_add_u32 v130, v130, s[sgprStrideC1J]            // ROWINC- Move cinRowPtr to next row
_v_add_u32 v131, v131, s[sgprStrideD1J]            // Move coutRowPtr to next row
	;; [unrolled: 25-line block ×3, first 2 shown]
v_cmp_lt_u32 s[52:53], v128, s[sgprSizeI]          // coord0 < size0
v_cmp_lt_u32 s[56:57], v129, s[sgprSizeJ]          // coord1 < size1
s_and_b64 s[56:57], s[52:53], s[56:57]             // in0 && in1
_v_add_lshl_u32 v158, v130, v128, 0x2              // scaleToBpe: accumulate d0 lower and *= bpe into Cin addr
v_cndmask_b32 v158, -1, v158, s[56:57]             // LDC clip if OOB. offset
_buffer_load_b32 v159, v158, s[sgprSrdC:sgprSrdC+3], 0, offen offset:0,  glc slc // load C for beta calc
_v_add_lshl_u32 v158, v131, v128, 0x2              // scaleToBpe: accumulate d0 lower and *= bpe into Cin addr
v_cndmask_b32 v158, -1, v158, s[56:57]             // LDD clip if OOB. offset
/* (d1,vc1,d0,vc0)=(5,3,1,0) */
s_mov_b32 s52, 128                                 // coordOffset0 d0=1 vc0=0
_v_add_co_u32 v132, vcc, v128, s52                 // coord0.2: coord0 += d0*sg0*VW + vc0
v_cmp_lt_u32 s[52:53], v132, s[sgprSizeI]          // coord0 < size0
v_cmp_lt_u32 s[56:57], v129, s[sgprSizeJ]          // coord1 < size1
s_and_b64 s[56:57], s[52:53], s[56:57]             // in0 && in1
_v_add_lshl_u32 v161, v130, v132, 0x2              // scaleToBpe: accumulate d0 lower and *= bpe into Cin addr
v_cndmask_b32 v161, -1, v161, s[56:57]             // LDC clip if OOB. offset
_buffer_load_b32 v162, v161, s[sgprSrdC:sgprSrdC+3], 0, offen offset:0,  glc slc // load C for beta calc
_v_add_lshl_u32 v161, v131, v132, 0x2              // scaleToBpe: accumulate d0 lower and *= bpe into Cin addr
v_cndmask_b32 v161, -1, v161, s[56:57]             // LDD clip if OOB. offset
/* (d1,vc1,d0,vc0)=(6,0,0,0) */
_v_add_co_u32 v129, vcc, v129, 5                   // coord1.1: coord1Vgpr += d1*sg1*VW + vc1

/* Fix for UseInitialStridesCD, emitAddressSetupCode */
s_mul_i32 s52, s[sgprStrideC1J], 5                 // scale stride
_v_add_u32 v130, v130, s52                         // ROWINC- Move cinRowPtr to next row
s_mul_i32 s52, s[sgprStrideD1J], 5                 // scale stride
_v_add_u32 v131, v131, s52                         // Move coutRowPtr to next row
v_cmp_lt_u32 s[52:53], v128, s[sgprSizeI]          // coord0 < size0
v_cmp_lt_u32 s[56:57], v129, s[sgprSizeJ]          // coord1 < size1
s_and_b64 s[56:57], s[52:53], s[56:57]             // in0 && in1
_v_add_lshl_u32 v164, v130, v128, 0x2              // scaleToBpe: accumulate d0 lower and *= bpe into Cin addr
v_cndmask_b32 v164, -1, v164, s[56:57]             // LDC clip if OOB. offset
_buffer_load_b32 v165, v164, s[sgprSrdC:sgprSrdC+3], 0, offen offset:0,  glc slc // load C for beta calc
_v_add_lshl_u32 v164, v131, v128, 0x2              // scaleToBpe: accumulate d0 lower and *= bpe into Cin addr
v_cndmask_b32 v164, -1, v164, s[56:57]             // LDD clip if OOB. offset
/* (d1,vc1,d0,vc0)=(6,0,1,0) */
s_mov_b32 s52, 128                                 // coordOffset0 d0=1 vc0=0
_v_add_co_u32 v132, vcc, v128, s52                 // coord0.2: coord0 += d0*sg0*VW + vc0
v_cmp_lt_u32 s[52:53], v132, s[sgprSizeI]          // coord0 < size0
v_cmp_lt_u32 s[56:57], v129, s[sgprSizeJ]          // coord1 < size1
s_and_b64 s[56:57], s[52:53], s[56:57]             // in0 && in1
_v_add_lshl_u32 v167, v130, v132, 0x2              // scaleToBpe: accumulate d0 lower and *= bpe into Cin addr
v_cndmask_b32 v167, -1, v167, s[56:57]             // LDC clip if OOB. offset
_buffer_load_b32 v168, v167, s[sgprSrdC:sgprSrdC+3], 0, offen offset:0,  glc slc // load C for beta calc
_v_add_lshl_u32 v167, v131, v132, 0x2              // scaleToBpe: accumulate d0 lower and *= bpe into Cin addr
v_cndmask_b32 v167, -1, v167, s[56:57]             // LDD clip if OOB. offset
/* (d1,vc1,d0,vc0)=(6,1,0,0) */
_v_add_co_u32 v129, vcc, v129, 1                   // coord1.1: coord1Vgpr += d1*sg1*VW + vc1

/* Fix for UseInitialStridesCD, emitAddressSetupCode */
_v_add_u32 v130, v130, s[sgprStrideC1J]            // ROWINC- Move cinRowPtr to next row
_v_add_u32 v131, v131, s[sgprStrideD1J]            // Move coutRowPtr to next row
v_cmp_lt_u32 s[52:53], v128, s[sgprSizeI]          // coord0 < size0
v_cmp_lt_u32 s[56:57], v129, s[sgprSizeJ]          // coord1 < size1
s_and_b64 s[56:57], s[52:53], s[56:57]             // in0 && in1
_v_add_lshl_u32 v173, v130, v128, 0x2              // scaleToBpe: accumulate d0 lower and *= bpe into Cin addr
v_cndmask_b32 v173, -1, v173, s[56:57]             // LDC clip if OOB. offset
_buffer_load_b32 v174, v173, s[sgprSrdC:sgprSrdC+3], 0, offen offset:0,  glc slc // load C for beta calc
_v_add_lshl_u32 v173, v131, v128, 0x2              // scaleToBpe: accumulate d0 lower and *= bpe into Cin addr
v_cndmask_b32 v173, -1, v173, s[56:57]             // LDD clip if OOB. offset
/* (d1,vc1,d0,vc0)=(6,1,1,0) */
s_mov_b32 s52, 128                                 // coordOffset0 d0=1 vc0=0
_v_add_co_u32 v132, vcc, v128, s52                 // coord0.2: coord0 += d0*sg0*VW + vc0
v_cmp_lt_u32 s[52:53], v132, s[sgprSizeI]          // coord0 < size0
v_cmp_lt_u32 s[56:57], v129, s[sgprSizeJ]          // coord1 < size1
s_and_b64 s[56:57], s[52:53], s[56:57]             // in0 && in1
_v_add_lshl_u32 v176, v130, v132, 0x2              // scaleToBpe: accumulate d0 lower and *= bpe into Cin addr
v_cndmask_b32 v176, -1, v176, s[56:57]             // LDC clip if OOB. offset
_buffer_load_b32 v177, v176, s[sgprSrdC:sgprSrdC+3], 0, offen offset:0,  glc slc // load C for beta calc
_v_add_lshl_u32 v176, v131, v132, 0x2              // scaleToBpe: accumulate d0 lower and *= bpe into Cin addr
v_cndmask_b32 v176, -1, v176, s[56:57]             // LDD clip if OOB. offset
/* (d1,vc1,d0,vc0)=(6,2,0,0) */
_v_add_co_u32 v129, vcc, v129, 1                   // coord1.1: coord1Vgpr += d1*sg1*VW + vc1

/* Fix for UseInitialStridesCD, emitAddressSetupCode */
_v_add_u32 v130, v130, s[sgprStrideC1J]            // ROWINC- Move cinRowPtr to next row
_v_add_u32 v131, v131, s[sgprStrideD1J]            // Move coutRowPtr to next row
	;; [unrolled: 25-line block ×3, first 2 shown]
v_cmp_lt_u32 s[52:53], v128, s[sgprSizeI]          // coord0 < size0
v_cmp_lt_u32 s[56:57], v129, s[sgprSizeJ]          // coord1 < size1
s_and_b64 s[56:57], s[52:53], s[56:57]             // in0 && in1
_v_add_lshl_u32 v185, v130, v128, 0x2              // scaleToBpe: accumulate d0 lower and *= bpe into Cin addr
v_cndmask_b32 v185, -1, v185, s[56:57]             // LDC clip if OOB. offset
_buffer_load_b32 v186, v185, s[sgprSrdC:sgprSrdC+3], 0, offen offset:0,  glc slc // load C for beta calc
_v_add_lshl_u32 v185, v131, v128, 0x2              // scaleToBpe: accumulate d0 lower and *= bpe into Cin addr
v_cndmask_b32 v185, -1, v185, s[56:57]             // LDD clip if OOB. offset
/* (d1,vc1,d0,vc0)=(6,3,1,0) */
s_mov_b32 s52, 128                                 // coordOffset0 d0=1 vc0=0
_v_add_co_u32 v132, vcc, v128, s52                 // coord0.2: coord0 += d0*sg0*VW + vc0
v_cmp_lt_u32 s[52:53], v132, s[sgprSizeI]          // coord0 < size0
v_cmp_lt_u32 s[56:57], v129, s[sgprSizeJ]          // coord1 < size1
s_and_b64 s[56:57], s[52:53], s[56:57]             // in0 && in1
_v_add_lshl_u32 v188, v130, v132, 0x2              // scaleToBpe: accumulate d0 lower and *= bpe into Cin addr
v_cndmask_b32 v188, -1, v188, s[56:57]             // LDC clip if OOB. offset
_buffer_load_b32 v189, v188, s[sgprSrdC:sgprSrdC+3], 0, offen offset:0,  glc slc // load C for beta calc
_v_add_lshl_u32 v188, v131, v132, 0x2              // scaleToBpe: accumulate d0 lower and *= bpe into Cin addr
v_cndmask_b32 v188, -1, v188, s[56:57]             // LDD clip if OOB. offset
/* (d1,vc1,d0,vc0)=(7,0,0,0) */
_v_add_co_u32 v129, vcc, v129, 5                   // coord1.1: coord1Vgpr += d1*sg1*VW + vc1

/* Fix for UseInitialStridesCD, emitAddressSetupCode */
s_mul_i32 s52, s[sgprStrideC1J], 5                 // scale stride
_v_add_u32 v130, v130, s52                         // ROWINC- Move cinRowPtr to next row
s_mul_i32 s52, s[sgprStrideD1J], 5                 // scale stride
_v_add_u32 v131, v131, s52                         // Move coutRowPtr to next row
v_cmp_lt_u32 s[52:53], v128, s[sgprSizeI]          // coord0 < size0
v_cmp_lt_u32 s[56:57], v129, s[sgprSizeJ]          // coord1 < size1
s_and_b64 s[56:57], s[52:53], s[56:57]             // in0 && in1
_v_add_lshl_u32 v191, v130, v128, 0x2              // scaleToBpe: accumulate d0 lower and *= bpe into Cin addr
v_cndmask_b32 v191, -1, v191, s[56:57]             // LDC clip if OOB. offset
_buffer_load_b32 v192, v191, s[sgprSrdC:sgprSrdC+3], 0, offen offset:0,  glc slc // load C for beta calc
_v_add_lshl_u32 v191, v131, v128, 0x2              // scaleToBpe: accumulate d0 lower and *= bpe into Cin addr
v_cndmask_b32 v191, -1, v191, s[56:57]             // LDD clip if OOB. offset
/* (d1,vc1,d0,vc0)=(7,0,1,0) */
s_mov_b32 s52, 128                                 // coordOffset0 d0=1 vc0=0
_v_add_co_u32 v132, vcc, v128, s52                 // coord0.2: coord0 += d0*sg0*VW + vc0
v_cmp_lt_u32 s[52:53], v132, s[sgprSizeI]          // coord0 < size0
v_cmp_lt_u32 s[56:57], v129, s[sgprSizeJ]          // coord1 < size1
s_and_b64 s[56:57], s[52:53], s[56:57]             // in0 && in1
_v_add_lshl_u32 v194, v130, v132, 0x2              // scaleToBpe: accumulate d0 lower and *= bpe into Cin addr
v_cndmask_b32 v194, -1, v194, s[56:57]             // LDC clip if OOB. offset
_buffer_load_b32 v195, v194, s[sgprSrdC:sgprSrdC+3], 0, offen offset:0,  glc slc // load C for beta calc
_v_add_lshl_u32 v194, v131, v132, 0x2              // scaleToBpe: accumulate d0 lower and *= bpe into Cin addr
v_cndmask_b32 v194, -1, v194, s[56:57]             // LDD clip if OOB. offset
/* (d1,vc1,d0,vc0)=(7,1,0,0) */
_v_add_co_u32 v129, vcc, v129, 1                   // coord1.1: coord1Vgpr += d1*sg1*VW + vc1

/* Fix for UseInitialStridesCD, emitAddressSetupCode */
_v_add_u32 v130, v130, s[sgprStrideC1J]            // ROWINC- Move cinRowPtr to next row
_v_add_u32 v131, v131, s[sgprStrideD1J]            // Move coutRowPtr to next row
v_cmp_lt_u32 s[52:53], v128, s[sgprSizeI]          // coord0 < size0
v_cmp_lt_u32 s[56:57], v129, s[sgprSizeJ]          // coord1 < size1
s_and_b64 s[56:57], s[52:53], s[56:57]             // in0 && in1
_v_add_lshl_u32 v197, v130, v128, 0x2              // scaleToBpe: accumulate d0 lower and *= bpe into Cin addr
v_cndmask_b32 v197, -1, v197, s[56:57]             // LDC clip if OOB. offset
_buffer_load_b32 v198, v197, s[sgprSrdC:sgprSrdC+3], 0, offen offset:0,  glc slc // load C for beta calc
_v_add_lshl_u32 v197, v131, v128, 0x2              // scaleToBpe: accumulate d0 lower and *= bpe into Cin addr
v_cndmask_b32 v197, -1, v197, s[56:57]             // LDD clip if OOB. offset
/* (d1,vc1,d0,vc0)=(7,1,1,0) */
s_mov_b32 s52, 128                                 // coordOffset0 d0=1 vc0=0
_v_add_co_u32 v132, vcc, v128, s52                 // coord0.2: coord0 += d0*sg0*VW + vc0
v_cmp_lt_u32 s[52:53], v132, s[sgprSizeI]          // coord0 < size0
v_cmp_lt_u32 s[56:57], v129, s[sgprSizeJ]          // coord1 < size1
s_and_b64 s[56:57], s[52:53], s[56:57]             // in0 && in1
_v_add_lshl_u32 v200, v130, v132, 0x2              // scaleToBpe: accumulate d0 lower and *= bpe into Cin addr
v_cndmask_b32 v200, -1, v200, s[56:57]             // LDC clip if OOB. offset
_buffer_load_b32 v201, v200, s[sgprSrdC:sgprSrdC+3], 0, offen offset:0,  glc slc // load C for beta calc
_v_add_lshl_u32 v200, v131, v132, 0x2              // scaleToBpe: accumulate d0 lower and *= bpe into Cin addr
v_cndmask_b32 v200, -1, v200, s[56:57]             // LDD clip if OOB. offset
/* (d1,vc1,d0,vc0)=(7,2,0,0) */
_v_add_co_u32 v129, vcc, v129, 1                   // coord1.1: coord1Vgpr += d1*sg1*VW + vc1

/* Fix for UseInitialStridesCD, emitAddressSetupCode */
_v_add_u32 v130, v130, s[sgprStrideC1J]            // ROWINC- Move cinRowPtr to next row
_v_add_u32 v131, v131, s[sgprStrideD1J]            // Move coutRowPtr to next row
	;; [unrolled: 25-line block ×3, first 2 shown]
v_cmp_lt_u32 s[52:53], v128, s[sgprSizeI]          // coord0 < size0
v_cmp_lt_u32 s[56:57], v129, s[sgprSizeJ]          // coord1 < size1
s_and_b64 s[56:57], s[52:53], s[56:57]             // in0 && in1
_v_add_lshl_u32 v209, v130, v128, 0x2              // scaleToBpe: accumulate d0 lower and *= bpe into Cin addr
v_cndmask_b32 v209, -1, v209, s[56:57]             // LDC clip if OOB. offset
_buffer_load_b32 v210, v209, s[sgprSrdC:sgprSrdC+3], 0, offen offset:0,  glc slc // load C for beta calc
_v_add_lshl_u32 v209, v131, v128, 0x2              // scaleToBpe: accumulate d0 lower and *= bpe into Cin addr
v_cndmask_b32 v209, -1, v209, s[56:57]             // LDD clip if OOB. offset
/* (d1,vc1,d0,vc0)=(7,3,1,0) */
s_mov_b32 s52, 128                                 // coordOffset0 d0=1 vc0=0
_v_add_co_u32 v132, vcc, v128, s52                 // coord0.2: coord0 += d0*sg0*VW + vc0
v_cmp_lt_u32 s[52:53], v132, s[sgprSizeI]          // coord0 < size0
v_cmp_lt_u32 s[56:57], v129, s[sgprSizeJ]          // coord1 < size1
s_and_b64 s[56:57], s[52:53], s[56:57]             // in0 && in1
_v_add_lshl_u32 v212, v130, v132, 0x2              // scaleToBpe: accumulate d0 lower and *= bpe into Cin addr
v_cndmask_b32 v212, -1, v212, s[56:57]             // LDC clip if OOB. offset
_buffer_load_b32 v213, v212, s[sgprSrdC:sgprSrdC+3], 0, offen offset:0,  glc slc // load C for beta calc
_v_add_lshl_u32 v212, v131, v132, 0x2              // scaleToBpe: accumulate d0 lower and *= bpe into Cin addr
v_cndmask_b32 v212, -1, v212, s[56:57]             // LDD clip if OOB. offset
/* (d1,vc1,d0,vc0)=(8,0,0,0) */
_v_add_co_u32 v129, vcc, v129, 5                   // coord1.1: coord1Vgpr += d1*sg1*VW + vc1

/* Fix for UseInitialStridesCD, emitAddressSetupCode */
s_mul_i32 s52, s[sgprStrideC1J], 5                 // scale stride
_v_add_u32 v130, v130, s52                         // ROWINC- Move cinRowPtr to next row
s_mul_i32 s52, s[sgprStrideD1J], 5                 // scale stride
_v_add_u32 v131, v131, s52                         // Move coutRowPtr to next row
v_cmp_lt_u32 s[52:53], v128, s[sgprSizeI]          // coord0 < size0
v_cmp_lt_u32 s[56:57], v129, s[sgprSizeJ]          // coord1 < size1
s_and_b64 s[56:57], s[52:53], s[56:57]             // in0 && in1
_v_add_lshl_u32 v215, v130, v128, 0x2              // scaleToBpe: accumulate d0 lower and *= bpe into Cin addr
v_cndmask_b32 v215, -1, v215, s[56:57]             // LDC clip if OOB. offset
_buffer_load_b32 v216, v215, s[sgprSrdC:sgprSrdC+3], 0, offen offset:0,  glc slc // load C for beta calc
_v_add_lshl_u32 v215, v131, v128, 0x2              // scaleToBpe: accumulate d0 lower and *= bpe into Cin addr
v_cndmask_b32 v215, -1, v215, s[56:57]             // LDD clip if OOB. offset
/* (d1,vc1,d0,vc0)=(8,0,1,0) */
s_mov_b32 s52, 128                                 // coordOffset0 d0=1 vc0=0
_v_add_co_u32 v132, vcc, v128, s52                 // coord0.2: coord0 += d0*sg0*VW + vc0
v_cmp_lt_u32 s[52:53], v132, s[sgprSizeI]          // coord0 < size0
v_cmp_lt_u32 s[56:57], v129, s[sgprSizeJ]          // coord1 < size1
s_and_b64 s[56:57], s[52:53], s[56:57]             // in0 && in1
_v_add_lshl_u32 v218, v130, v132, 0x2              // scaleToBpe: accumulate d0 lower and *= bpe into Cin addr
v_cndmask_b32 v218, -1, v218, s[56:57]             // LDC clip if OOB. offset
_buffer_load_b32 v219, v218, s[sgprSrdC:sgprSrdC+3], 0, offen offset:0,  glc slc // load C for beta calc
_v_add_lshl_u32 v218, v131, v132, 0x2              // scaleToBpe: accumulate d0 lower and *= bpe into Cin addr
v_cndmask_b32 v218, -1, v218, s[56:57]             // LDD clip if OOB. offset
/* (d1,vc1,d0,vc0)=(8,1,0,0) */
_v_add_co_u32 v129, vcc, v129, 1                   // coord1.1: coord1Vgpr += d1*sg1*VW + vc1

/* Fix for UseInitialStridesCD, emitAddressSetupCode */
_v_add_u32 v130, v130, s[sgprStrideC1J]            // ROWINC- Move cinRowPtr to next row
_v_add_u32 v131, v131, s[sgprStrideD1J]            // Move coutRowPtr to next row
v_cmp_lt_u32 s[52:53], v128, s[sgprSizeI]          // coord0 < size0
v_cmp_lt_u32 s[56:57], v129, s[sgprSizeJ]          // coord1 < size1
s_and_b64 s[56:57], s[52:53], s[56:57]             // in0 && in1
_v_add_lshl_u32 v221, v130, v128, 0x2              // scaleToBpe: accumulate d0 lower and *= bpe into Cin addr
v_cndmask_b32 v221, -1, v221, s[56:57]             // LDC clip if OOB. offset
_buffer_load_b32 v222, v221, s[sgprSrdC:sgprSrdC+3], 0, offen offset:0,  glc slc // load C for beta calc
_v_add_lshl_u32 v221, v131, v128, 0x2              // scaleToBpe: accumulate d0 lower and *= bpe into Cin addr
v_cndmask_b32 v221, -1, v221, s[56:57]             // LDD clip if OOB. offset
/* (d1,vc1,d0,vc0)=(8,1,1,0) */
s_mov_b32 s52, 128                                 // coordOffset0 d0=1 vc0=0
_v_add_co_u32 v132, vcc, v128, s52                 // coord0.2: coord0 += d0*sg0*VW + vc0
v_cmp_lt_u32 s[52:53], v132, s[sgprSizeI]          // coord0 < size0
v_cmp_lt_u32 s[56:57], v129, s[sgprSizeJ]          // coord1 < size1
s_and_b64 s[56:57], s[52:53], s[56:57]             // in0 && in1
_v_add_lshl_u32 v224, v130, v132, 0x2              // scaleToBpe: accumulate d0 lower and *= bpe into Cin addr
v_cndmask_b32 v224, -1, v224, s[56:57]             // LDC clip if OOB. offset
_buffer_load_b32 v225, v224, s[sgprSrdC:sgprSrdC+3], 0, offen offset:0,  glc slc // load C for beta calc
_v_add_lshl_u32 v224, v131, v132, 0x2              // scaleToBpe: accumulate d0 lower and *= bpe into Cin addr
v_cndmask_b32 v224, -1, v224, s[56:57]             // LDD clip if OOB. offset
/* (d1,vc1,d0,vc0)=(8,2,0,0) */
_v_add_co_u32 v129, vcc, v129, 1                   // coord1.1: coord1Vgpr += d1*sg1*VW + vc1

/* Fix for UseInitialStridesCD, emitAddressSetupCode */
_v_add_u32 v130, v130, s[sgprStrideC1J]            // ROWINC- Move cinRowPtr to next row
_v_add_u32 v131, v131, s[sgprStrideD1J]            // Move coutRowPtr to next row
	;; [unrolled: 25-line block ×3, first 2 shown]
v_cmp_lt_u32 s[52:53], v128, s[sgprSizeI]          // coord0 < size0
v_cmp_lt_u32 s[56:57], v129, s[sgprSizeJ]          // coord1 < size1
s_and_b64 s[56:57], s[52:53], s[56:57]             // in0 && in1
_v_add_lshl_u32 v233, v130, v128, 0x2              // scaleToBpe: accumulate d0 lower and *= bpe into Cin addr
v_cndmask_b32 v233, -1, v233, s[56:57]             // LDC clip if OOB. offset
_buffer_load_b32 v234, v233, s[sgprSrdC:sgprSrdC+3], 0, offen offset:0,  glc slc // load C for beta calc
_v_add_lshl_u32 v233, v131, v128, 0x2              // scaleToBpe: accumulate d0 lower and *= bpe into Cin addr
v_cndmask_b32 v233, -1, v233, s[56:57]             // LDD clip if OOB. offset
/* (d1,vc1,d0,vc0)=(8,3,1,0) */
s_mov_b32 s52, 128                                 // coordOffset0 d0=1 vc0=0
_v_add_co_u32 v132, vcc, v128, s52                 // coord0.2: coord0 += d0*sg0*VW + vc0
v_cmp_lt_u32 s[52:53], v132, s[sgprSizeI]          // coord0 < size0
v_cmp_lt_u32 s[56:57], v129, s[sgprSizeJ]          // coord1 < size1
s_and_b64 s[56:57], s[52:53], s[56:57]             // in0 && in1
_v_add_lshl_u32 v236, v130, v132, 0x2              // scaleToBpe: accumulate d0 lower and *= bpe into Cin addr
v_cndmask_b32 v236, -1, v236, s[56:57]             // LDC clip if OOB. offset
_buffer_load_b32 v237, v236, s[sgprSrdC:sgprSrdC+3], 0, offen offset:0,  glc slc // load C for beta calc
_v_add_lshl_u32 v236, v131, v132, 0x2              // scaleToBpe: accumulate d0 lower and *= bpe into Cin addr
v_cndmask_b32 v236, -1, v236, s[56:57]             // LDD clip if OOB. offset
/* (d1,vc1,d0,vc0)=(9,0,0,0) */
_v_add_co_u32 v129, vcc, v129, 5                   // coord1.1: coord1Vgpr += d1*sg1*VW + vc1

/* Fix for UseInitialStridesCD, emitAddressSetupCode */
s_mul_i32 s52, s[sgprStrideC1J], 5                 // scale stride
_v_add_u32 v130, v130, s52                         // ROWINC- Move cinRowPtr to next row
s_mul_i32 s52, s[sgprStrideD1J], 5                 // scale stride
_v_add_u32 v131, v131, s52                         // Move coutRowPtr to next row
v_cmp_lt_u32 s[52:53], v128, s[sgprSizeI]          // coord0 < size0
v_cmp_lt_u32 s[56:57], v129, s[sgprSizeJ]          // coord1 < size1
s_and_b64 s[56:57], s[52:53], s[56:57]             // in0 && in1
_v_add_lshl_u32 v239, v130, v128, 0x2              // scaleToBpe: accumulate d0 lower and *= bpe into Cin addr
v_cndmask_b32 v239, -1, v239, s[56:57]             // LDC clip if OOB. offset
_buffer_load_b32 v240, v239, s[sgprSrdC:sgprSrdC+3], 0, offen offset:0,  glc slc // load C for beta calc
_v_add_lshl_u32 v239, v131, v128, 0x2              // scaleToBpe: accumulate d0 lower and *= bpe into Cin addr
v_cndmask_b32 v239, -1, v239, s[56:57]             // LDD clip if OOB. offset
/* (d1,vc1,d0,vc0)=(9,0,1,0) */
s_mov_b32 s52, 128                                 // coordOffset0 d0=1 vc0=0
_v_add_co_u32 v132, vcc, v128, s52                 // coord0.2: coord0 += d0*sg0*VW + vc0
v_cmp_lt_u32 s[52:53], v132, s[sgprSizeI]          // coord0 < size0
v_cmp_lt_u32 s[56:57], v129, s[sgprSizeJ]          // coord1 < size1
s_and_b64 s[56:57], s[52:53], s[56:57]             // in0 && in1
_v_add_lshl_u32 v242, v130, v132, 0x2              // scaleToBpe: accumulate d0 lower and *= bpe into Cin addr
v_cndmask_b32 v242, -1, v242, s[56:57]             // LDC clip if OOB. offset
_buffer_load_b32 v243, v242, s[sgprSrdC:sgprSrdC+3], 0, offen offset:0,  glc slc // load C for beta calc
_v_add_lshl_u32 v242, v131, v132, 0x2              // scaleToBpe: accumulate d0 lower and *= bpe into Cin addr
v_cndmask_b32 v242, -1, v242, s[56:57]             // LDD clip if OOB. offset
/* (d1,vc1,d0,vc0)=(9,1,0,0) */
_v_add_co_u32 v129, vcc, v129, 1                   // coord1.1: coord1Vgpr += d1*sg1*VW + vc1

/* Fix for UseInitialStridesCD, emitAddressSetupCode */
_v_add_u32 v130, v130, s[sgprStrideC1J]            // ROWINC- Move cinRowPtr to next row
_v_add_u32 v131, v131, s[sgprStrideD1J]            // Move coutRowPtr to next row
v_cmp_lt_u32 s[52:53], v128, s[sgprSizeI]          // coord0 < size0
v_cmp_lt_u32 s[56:57], v129, s[sgprSizeJ]          // coord1 < size1
s_and_b64 s[56:57], s[52:53], s[56:57]             // in0 && in1
_v_add_lshl_u32 v245, v130, v128, 0x2              // scaleToBpe: accumulate d0 lower and *= bpe into Cin addr
v_cndmask_b32 v245, -1, v245, s[56:57]             // LDC clip if OOB. offset
_buffer_load_b32 v246, v245, s[sgprSrdC:sgprSrdC+3], 0, offen offset:0,  glc slc // load C for beta calc
_v_add_lshl_u32 v245, v131, v128, 0x2              // scaleToBpe: accumulate d0 lower and *= bpe into Cin addr
v_cndmask_b32 v245, -1, v245, s[56:57]             // LDD clip if OOB. offset
/* (d1,vc1,d0,vc0)=(9,1,1,0) */
s_mov_b32 s52, 128                                 // coordOffset0 d0=1 vc0=0
_v_add_co_u32 v132, vcc, v128, s52                 // coord0.2: coord0 += d0*sg0*VW + vc0
v_cmp_lt_u32 s[52:53], v132, s[sgprSizeI]          // coord0 < size0
v_cmp_lt_u32 s[56:57], v129, s[sgprSizeJ]          // coord1 < size1
s_and_b64 s[56:57], s[52:53], s[56:57]             // in0 && in1
_v_add_lshl_u32 v248, v130, v132, 0x2              // scaleToBpe: accumulate d0 lower and *= bpe into Cin addr
v_cndmask_b32 v248, -1, v248, s[56:57]             // LDC clip if OOB. offset
_buffer_load_b32 v249, v248, s[sgprSrdC:sgprSrdC+3], 0, offen offset:0,  glc slc // load C for beta calc
_v_add_lshl_u32 v248, v131, v132, 0x2              // scaleToBpe: accumulate d0 lower and *= bpe into Cin addr
v_cndmask_b32 v248, -1, v248, s[56:57]             // LDD clip if OOB. offset
s_sleep 1 // optimization: sync and wait
s_barrier
s_waitcnt vmcnt(0)                                 // wait C

/* apply mask, calc new C and issue writes */
_v_mac_f32 v[vgprValuC+136], v135, s[sgprBeta]     // finalSum = sum*alpha + C*beta
_buffer_store_b32 v136, v134, s[sgprSrdD:sgprSrdD+3], 0, offen, offset:0,  glc slc // store D
_v_mac_f32 v[vgprValuC+139], v138, s[sgprBeta]     // finalSum = sum*alpha + C*beta
_buffer_store_b32 v139, v137, s[sgprSrdD:sgprSrdD+3], 0, offen, offset:0,  glc slc // store D
	;; [unrolled: 2-line block ×38, first 2 shown]
s_nop 0                                            // 1 wait state required when next inst writes vgprs held by previous dwordx4 store inst
/* optSingleColVgpr=0 optSharedColVgpr=0 optSGPRUsage=BufferLoad_Edge_Mask optSrdIncForRow=0 */
s_sleep 1 // optimization: sync and wait
s_barrier

/******************************************/
/* Global Write Alpha Beta Edge Batch #2 (d1,d0,vc1,vc0) = */
/*    (9,0,2,0:vw1); (9,1,2,0:vw1); (9,0,3,0:vw1); (9,1,3,0:vw1); (10,0,0,0:vw1); (10,1,0,0:vw1); (10,0,1,0:vw1); (10,1,1,0:vw1); (10,0,2,0:vw1); (10,1,2,0:vw1); (10,0,3,0:vw1); (10,1,3,0:vw1); (11,0,0,0:vw1); (11,1,0,0:vw1); (11,0,1,0:vw1); (11,1,1,0:vw1); (11,0,2,0:vw1); (11,1,2,0:vw1); (11,0,3,0:vw1); (11,1,3,0:vw1); (12,0,0,0:vw1); (12,1,0,0:vw1); (12,0,1,0:vw1); (12,1,1,0:vw1); (12,0,2,0:vw1); (12,1,2,0:vw1); (12,0,3,0:vw1); (12,1,3,0:vw1); (13,0,0,0:vw1); (13,1,0,0:vw1); (13,0,1,0:vw1); (13,1,1,0:vw1); (13,0,2,0:vw1); (13,1,2,0:vw1); (13,0,3,0:vw1); (13,1,3,0:vw1); (14,0,0,0:vw1); (14,1,0,0:vw1) */
/******************************************/

/* calc coords, apply mask, and issue loads (if necessary) */

/* rC *= alpha batchElements=[(9, 0, 2, 0), (9, 1, 2, 0), (9, 0, 3, 0), (9, 1, 3, 0), (10, 0, 0, 0), (10, 1, 0, 0), (10, 0, 1, 0), (10, 1, 1, 0), (10, 0, 2, 0), (10, 1, 2, 0), (10, 0, 3, 0), (10, 1, 3, 0), (11, 0, 0, 0), (11, 1, 0, 0), (11, 0, 1, 0), (11, 1, 1, 0), (11, 0, 2, 0), (11, 1, 2, 0), (11, 0, 3, 0), (11, 1, 3, 0), (12, 0, 0, 0), (12, 1, 0, 0), (12, 0, 1, 0), (12, 1, 1, 0), (12, 0, 2, 0), (12, 1, 2, 0), (12, 0, 3, 0), (12, 1, 3, 0), (13, 0, 0, 0), (13, 1, 0, 0), (13, 0, 1, 0), (13, 1, 1, 0), (13, 0, 2, 0), (13, 1, 2, 0), (13, 0, 3, 0), (13, 1, 3, 0), (14, 0, 0, 0), (14, 1, 0, 0)] */
v_mul_f32 v[vgprValuC+136], s[sgprAlpha], v[vgprValuC+70] // Multiply MI out reg with alpha
v_mul_f32 v[vgprValuC+139], s[sgprAlpha], v[vgprValuC+86] // Multiply MI out reg with alpha
	;; [unrolled: 1-line block ×38, first 2 shown]
/* (d1,vc1,d0,vc0)=(9,2,0,0) */
_v_add_co_u32 v129, vcc, v129, 1                   // coord1.1: coord1Vgpr += d1*sg1*VW + vc1

/* Fix for UseInitialStridesCD, emitAddressSetupCode */
_v_add_u32 v130, v130, s[sgprStrideC1J]            // ROWINC- Move cinRowPtr to next row
_v_add_u32 v131, v131, s[sgprStrideD1J]            // Move coutRowPtr to next row
v_cmp_lt_u32 s[52:53], v128, s[sgprSizeI]          // coord0 < size0
v_cmp_lt_u32 s[56:57], v129, s[sgprSizeJ]          // coord1 < size1
s_and_b64 s[56:57], s[52:53], s[56:57]             // in0 && in1
_v_add_lshl_u32 v134, v130, v128, 0x2              // scaleToBpe: accumulate d0 lower and *= bpe into Cin addr
v_cndmask_b32 v134, -1, v134, s[56:57]             // LDC clip if OOB. offset
_buffer_load_b32 v135, v134, s[sgprSrdC:sgprSrdC+3], 0, offen offset:0,  glc slc // load C for beta calc
_v_add_lshl_u32 v134, v131, v128, 0x2              // scaleToBpe: accumulate d0 lower and *= bpe into Cin addr
v_cndmask_b32 v134, -1, v134, s[56:57]             // LDD clip if OOB. offset
/* (d1,vc1,d0,vc0)=(9,2,1,0) */
s_mov_b32 s52, 128                                 // coordOffset0 d0=1 vc0=0
_v_add_co_u32 v132, vcc, v128, s52                 // coord0.2: coord0 += d0*sg0*VW + vc0
v_cmp_lt_u32 s[52:53], v132, s[sgprSizeI]          // coord0 < size0
v_cmp_lt_u32 s[56:57], v129, s[sgprSizeJ]          // coord1 < size1
s_and_b64 s[56:57], s[52:53], s[56:57]             // in0 && in1
_v_add_lshl_u32 v137, v130, v132, 0x2              // scaleToBpe: accumulate d0 lower and *= bpe into Cin addr
v_cndmask_b32 v137, -1, v137, s[56:57]             // LDC clip if OOB. offset
_buffer_load_b32 v138, v137, s[sgprSrdC:sgprSrdC+3], 0, offen offset:0,  glc slc // load C for beta calc
_v_add_lshl_u32 v137, v131, v132, 0x2              // scaleToBpe: accumulate d0 lower and *= bpe into Cin addr
v_cndmask_b32 v137, -1, v137, s[56:57]             // LDD clip if OOB. offset
/* (d1,vc1,d0,vc0)=(9,3,0,0) */
_v_add_co_u32 v129, vcc, v129, 1                   // coord1.1: coord1Vgpr += d1*sg1*VW + vc1

/* Fix for UseInitialStridesCD, emitAddressSetupCode */
_v_add_u32 v130, v130, s[sgprStrideC1J]            // ROWINC- Move cinRowPtr to next row
_v_add_u32 v131, v131, s[sgprStrideD1J]            // Move coutRowPtr to next row
v_cmp_lt_u32 s[52:53], v128, s[sgprSizeI]          // coord0 < size0
v_cmp_lt_u32 s[56:57], v129, s[sgprSizeJ]          // coord1 < size1
s_and_b64 s[56:57], s[52:53], s[56:57]             // in0 && in1
_v_add_lshl_u32 v140, v130, v128, 0x2              // scaleToBpe: accumulate d0 lower and *= bpe into Cin addr
v_cndmask_b32 v140, -1, v140, s[56:57]             // LDC clip if OOB. offset
_buffer_load_b32 v141, v140, s[sgprSrdC:sgprSrdC+3], 0, offen offset:0,  glc slc // load C for beta calc
_v_add_lshl_u32 v140, v131, v128, 0x2              // scaleToBpe: accumulate d0 lower and *= bpe into Cin addr
v_cndmask_b32 v140, -1, v140, s[56:57]             // LDD clip if OOB. offset
/* (d1,vc1,d0,vc0)=(9,3,1,0) */
s_mov_b32 s52, 128                                 // coordOffset0 d0=1 vc0=0
_v_add_co_u32 v132, vcc, v128, s52                 // coord0.2: coord0 += d0*sg0*VW + vc0
v_cmp_lt_u32 s[52:53], v132, s[sgprSizeI]          // coord0 < size0
v_cmp_lt_u32 s[56:57], v129, s[sgprSizeJ]          // coord1 < size1
s_and_b64 s[56:57], s[52:53], s[56:57]             // in0 && in1
_v_add_lshl_u32 v143, v130, v132, 0x2              // scaleToBpe: accumulate d0 lower and *= bpe into Cin addr
v_cndmask_b32 v143, -1, v143, s[56:57]             // LDC clip if OOB. offset
_buffer_load_b32 v144, v143, s[sgprSrdC:sgprSrdC+3], 0, offen offset:0,  glc slc // load C for beta calc
_v_add_lshl_u32 v143, v131, v132, 0x2              // scaleToBpe: accumulate d0 lower and *= bpe into Cin addr
v_cndmask_b32 v143, -1, v143, s[56:57]             // LDD clip if OOB. offset
/* (d1,vc1,d0,vc0)=(10,0,0,0) */
_v_add_co_u32 v129, vcc, v129, 5                   // coord1.1: coord1Vgpr += d1*sg1*VW + vc1

/* Fix for UseInitialStridesCD, emitAddressSetupCode */
s_mul_i32 s52, s[sgprStrideC1J], 5                 // scale stride
_v_add_u32 v130, v130, s52                         // ROWINC- Move cinRowPtr to next row
s_mul_i32 s52, s[sgprStrideD1J], 5                 // scale stride
_v_add_u32 v131, v131, s52                         // Move coutRowPtr to next row
v_cmp_lt_u32 s[52:53], v128, s[sgprSizeI]          // coord0 < size0
v_cmp_lt_u32 s[56:57], v129, s[sgprSizeJ]          // coord1 < size1
s_and_b64 s[56:57], s[52:53], s[56:57]             // in0 && in1
_v_add_lshl_u32 v146, v130, v128, 0x2              // scaleToBpe: accumulate d0 lower and *= bpe into Cin addr
v_cndmask_b32 v146, -1, v146, s[56:57]             // LDC clip if OOB. offset
_buffer_load_b32 v147, v146, s[sgprSrdC:sgprSrdC+3], 0, offen offset:0,  glc slc // load C for beta calc
_v_add_lshl_u32 v146, v131, v128, 0x2              // scaleToBpe: accumulate d0 lower and *= bpe into Cin addr
v_cndmask_b32 v146, -1, v146, s[56:57]             // LDD clip if OOB. offset
/* (d1,vc1,d0,vc0)=(10,0,1,0) */
s_mov_b32 s52, 128                                 // coordOffset0 d0=1 vc0=0
_v_add_co_u32 v132, vcc, v128, s52                 // coord0.2: coord0 += d0*sg0*VW + vc0
v_cmp_lt_u32 s[52:53], v132, s[sgprSizeI]          // coord0 < size0
v_cmp_lt_u32 s[56:57], v129, s[sgprSizeJ]          // coord1 < size1
s_and_b64 s[56:57], s[52:53], s[56:57]             // in0 && in1
_v_add_lshl_u32 v149, v130, v132, 0x2              // scaleToBpe: accumulate d0 lower and *= bpe into Cin addr
v_cndmask_b32 v149, -1, v149, s[56:57]             // LDC clip if OOB. offset
_buffer_load_b32 v150, v149, s[sgprSrdC:sgprSrdC+3], 0, offen offset:0,  glc slc // load C for beta calc
_v_add_lshl_u32 v149, v131, v132, 0x2              // scaleToBpe: accumulate d0 lower and *= bpe into Cin addr
v_cndmask_b32 v149, -1, v149, s[56:57]             // LDD clip if OOB. offset
/* (d1,vc1,d0,vc0)=(10,1,0,0) */
_v_add_co_u32 v129, vcc, v129, 1                   // coord1.1: coord1Vgpr += d1*sg1*VW + vc1

/* Fix for UseInitialStridesCD, emitAddressSetupCode */
_v_add_u32 v130, v130, s[sgprStrideC1J]            // ROWINC- Move cinRowPtr to next row
_v_add_u32 v131, v131, s[sgprStrideD1J]            // Move coutRowPtr to next row
v_cmp_lt_u32 s[52:53], v128, s[sgprSizeI]          // coord0 < size0
v_cmp_lt_u32 s[56:57], v129, s[sgprSizeJ]          // coord1 < size1
s_and_b64 s[56:57], s[52:53], s[56:57]             // in0 && in1
_v_add_lshl_u32 v152, v130, v128, 0x2              // scaleToBpe: accumulate d0 lower and *= bpe into Cin addr
v_cndmask_b32 v152, -1, v152, s[56:57]             // LDC clip if OOB. offset
_buffer_load_b32 v153, v152, s[sgprSrdC:sgprSrdC+3], 0, offen offset:0,  glc slc // load C for beta calc
_v_add_lshl_u32 v152, v131, v128, 0x2              // scaleToBpe: accumulate d0 lower and *= bpe into Cin addr
v_cndmask_b32 v152, -1, v152, s[56:57]             // LDD clip if OOB. offset
/* (d1,vc1,d0,vc0)=(10,1,1,0) */
s_mov_b32 s52, 128                                 // coordOffset0 d0=1 vc0=0
_v_add_co_u32 v132, vcc, v128, s52                 // coord0.2: coord0 += d0*sg0*VW + vc0
v_cmp_lt_u32 s[52:53], v132, s[sgprSizeI]          // coord0 < size0
v_cmp_lt_u32 s[56:57], v129, s[sgprSizeJ]          // coord1 < size1
s_and_b64 s[56:57], s[52:53], s[56:57]             // in0 && in1
_v_add_lshl_u32 v155, v130, v132, 0x2              // scaleToBpe: accumulate d0 lower and *= bpe into Cin addr
v_cndmask_b32 v155, -1, v155, s[56:57]             // LDC clip if OOB. offset
_buffer_load_b32 v156, v155, s[sgprSrdC:sgprSrdC+3], 0, offen offset:0,  glc slc // load C for beta calc
_v_add_lshl_u32 v155, v131, v132, 0x2              // scaleToBpe: accumulate d0 lower and *= bpe into Cin addr
v_cndmask_b32 v155, -1, v155, s[56:57]             // LDD clip if OOB. offset
/* (d1,vc1,d0,vc0)=(10,2,0,0) */
_v_add_co_u32 v129, vcc, v129, 1                   // coord1.1: coord1Vgpr += d1*sg1*VW + vc1

/* Fix for UseInitialStridesCD, emitAddressSetupCode */
_v_add_u32 v130, v130, s[sgprStrideC1J]            // ROWINC- Move cinRowPtr to next row
_v_add_u32 v131, v131, s[sgprStrideD1J]            // Move coutRowPtr to next row
	;; [unrolled: 25-line block ×3, first 2 shown]
v_cmp_lt_u32 s[52:53], v128, s[sgprSizeI]          // coord0 < size0
v_cmp_lt_u32 s[56:57], v129, s[sgprSizeJ]          // coord1 < size1
s_and_b64 s[56:57], s[52:53], s[56:57]             // in0 && in1
_v_add_lshl_u32 v164, v130, v128, 0x2              // scaleToBpe: accumulate d0 lower and *= bpe into Cin addr
v_cndmask_b32 v164, -1, v164, s[56:57]             // LDC clip if OOB. offset
_buffer_load_b32 v165, v164, s[sgprSrdC:sgprSrdC+3], 0, offen offset:0,  glc slc // load C for beta calc
_v_add_lshl_u32 v164, v131, v128, 0x2              // scaleToBpe: accumulate d0 lower and *= bpe into Cin addr
v_cndmask_b32 v164, -1, v164, s[56:57]             // LDD clip if OOB. offset
/* (d1,vc1,d0,vc0)=(10,3,1,0) */
s_mov_b32 s52, 128                                 // coordOffset0 d0=1 vc0=0
_v_add_co_u32 v132, vcc, v128, s52                 // coord0.2: coord0 += d0*sg0*VW + vc0
v_cmp_lt_u32 s[52:53], v132, s[sgprSizeI]          // coord0 < size0
v_cmp_lt_u32 s[56:57], v129, s[sgprSizeJ]          // coord1 < size1
s_and_b64 s[56:57], s[52:53], s[56:57]             // in0 && in1
_v_add_lshl_u32 v167, v130, v132, 0x2              // scaleToBpe: accumulate d0 lower and *= bpe into Cin addr
v_cndmask_b32 v167, -1, v167, s[56:57]             // LDC clip if OOB. offset
_buffer_load_b32 v168, v167, s[sgprSrdC:sgprSrdC+3], 0, offen offset:0,  glc slc // load C for beta calc
_v_add_lshl_u32 v167, v131, v132, 0x2              // scaleToBpe: accumulate d0 lower and *= bpe into Cin addr
v_cndmask_b32 v167, -1, v167, s[56:57]             // LDD clip if OOB. offset
/* (d1,vc1,d0,vc0)=(11,0,0,0) */
_v_add_co_u32 v129, vcc, v129, 5                   // coord1.1: coord1Vgpr += d1*sg1*VW + vc1

/* Fix for UseInitialStridesCD, emitAddressSetupCode */
s_mul_i32 s52, s[sgprStrideC1J], 5                 // scale stride
_v_add_u32 v130, v130, s52                         // ROWINC- Move cinRowPtr to next row
s_mul_i32 s52, s[sgprStrideD1J], 5                 // scale stride
_v_add_u32 v131, v131, s52                         // Move coutRowPtr to next row
v_cmp_lt_u32 s[52:53], v128, s[sgprSizeI]          // coord0 < size0
v_cmp_lt_u32 s[56:57], v129, s[sgprSizeJ]          // coord1 < size1
s_and_b64 s[56:57], s[52:53], s[56:57]             // in0 && in1
_v_add_lshl_u32 v173, v130, v128, 0x2              // scaleToBpe: accumulate d0 lower and *= bpe into Cin addr
v_cndmask_b32 v173, -1, v173, s[56:57]             // LDC clip if OOB. offset
_buffer_load_b32 v174, v173, s[sgprSrdC:sgprSrdC+3], 0, offen offset:0,  glc slc // load C for beta calc
_v_add_lshl_u32 v173, v131, v128, 0x2              // scaleToBpe: accumulate d0 lower and *= bpe into Cin addr
v_cndmask_b32 v173, -1, v173, s[56:57]             // LDD clip if OOB. offset
/* (d1,vc1,d0,vc0)=(11,0,1,0) */
s_mov_b32 s52, 128                                 // coordOffset0 d0=1 vc0=0
_v_add_co_u32 v132, vcc, v128, s52                 // coord0.2: coord0 += d0*sg0*VW + vc0
v_cmp_lt_u32 s[52:53], v132, s[sgprSizeI]          // coord0 < size0
v_cmp_lt_u32 s[56:57], v129, s[sgprSizeJ]          // coord1 < size1
s_and_b64 s[56:57], s[52:53], s[56:57]             // in0 && in1
_v_add_lshl_u32 v176, v130, v132, 0x2              // scaleToBpe: accumulate d0 lower and *= bpe into Cin addr
v_cndmask_b32 v176, -1, v176, s[56:57]             // LDC clip if OOB. offset
_buffer_load_b32 v177, v176, s[sgprSrdC:sgprSrdC+3], 0, offen offset:0,  glc slc // load C for beta calc
_v_add_lshl_u32 v176, v131, v132, 0x2              // scaleToBpe: accumulate d0 lower and *= bpe into Cin addr
v_cndmask_b32 v176, -1, v176, s[56:57]             // LDD clip if OOB. offset
/* (d1,vc1,d0,vc0)=(11,1,0,0) */
_v_add_co_u32 v129, vcc, v129, 1                   // coord1.1: coord1Vgpr += d1*sg1*VW + vc1

/* Fix for UseInitialStridesCD, emitAddressSetupCode */
_v_add_u32 v130, v130, s[sgprStrideC1J]            // ROWINC- Move cinRowPtr to next row
_v_add_u32 v131, v131, s[sgprStrideD1J]            // Move coutRowPtr to next row
v_cmp_lt_u32 s[52:53], v128, s[sgprSizeI]          // coord0 < size0
v_cmp_lt_u32 s[56:57], v129, s[sgprSizeJ]          // coord1 < size1
s_and_b64 s[56:57], s[52:53], s[56:57]             // in0 && in1
_v_add_lshl_u32 v179, v130, v128, 0x2              // scaleToBpe: accumulate d0 lower and *= bpe into Cin addr
v_cndmask_b32 v179, -1, v179, s[56:57]             // LDC clip if OOB. offset
_buffer_load_b32 v180, v179, s[sgprSrdC:sgprSrdC+3], 0, offen offset:0,  glc slc // load C for beta calc
_v_add_lshl_u32 v179, v131, v128, 0x2              // scaleToBpe: accumulate d0 lower and *= bpe into Cin addr
v_cndmask_b32 v179, -1, v179, s[56:57]             // LDD clip if OOB. offset
/* (d1,vc1,d0,vc0)=(11,1,1,0) */
s_mov_b32 s52, 128                                 // coordOffset0 d0=1 vc0=0
_v_add_co_u32 v132, vcc, v128, s52                 // coord0.2: coord0 += d0*sg0*VW + vc0
v_cmp_lt_u32 s[52:53], v132, s[sgprSizeI]          // coord0 < size0
v_cmp_lt_u32 s[56:57], v129, s[sgprSizeJ]          // coord1 < size1
s_and_b64 s[56:57], s[52:53], s[56:57]             // in0 && in1
_v_add_lshl_u32 v182, v130, v132, 0x2              // scaleToBpe: accumulate d0 lower and *= bpe into Cin addr
v_cndmask_b32 v182, -1, v182, s[56:57]             // LDC clip if OOB. offset
_buffer_load_b32 v183, v182, s[sgprSrdC:sgprSrdC+3], 0, offen offset:0,  glc slc // load C for beta calc
_v_add_lshl_u32 v182, v131, v132, 0x2              // scaleToBpe: accumulate d0 lower and *= bpe into Cin addr
v_cndmask_b32 v182, -1, v182, s[56:57]             // LDD clip if OOB. offset
/* (d1,vc1,d0,vc0)=(11,2,0,0) */
_v_add_co_u32 v129, vcc, v129, 1                   // coord1.1: coord1Vgpr += d1*sg1*VW + vc1

/* Fix for UseInitialStridesCD, emitAddressSetupCode */
_v_add_u32 v130, v130, s[sgprStrideC1J]            // ROWINC- Move cinRowPtr to next row
_v_add_u32 v131, v131, s[sgprStrideD1J]            // Move coutRowPtr to next row
	;; [unrolled: 25-line block ×3, first 2 shown]
v_cmp_lt_u32 s[52:53], v128, s[sgprSizeI]          // coord0 < size0
v_cmp_lt_u32 s[56:57], v129, s[sgprSizeJ]          // coord1 < size1
s_and_b64 s[56:57], s[52:53], s[56:57]             // in0 && in1
_v_add_lshl_u32 v191, v130, v128, 0x2              // scaleToBpe: accumulate d0 lower and *= bpe into Cin addr
v_cndmask_b32 v191, -1, v191, s[56:57]             // LDC clip if OOB. offset
_buffer_load_b32 v192, v191, s[sgprSrdC:sgprSrdC+3], 0, offen offset:0,  glc slc // load C for beta calc
_v_add_lshl_u32 v191, v131, v128, 0x2              // scaleToBpe: accumulate d0 lower and *= bpe into Cin addr
v_cndmask_b32 v191, -1, v191, s[56:57]             // LDD clip if OOB. offset
/* (d1,vc1,d0,vc0)=(11,3,1,0) */
s_mov_b32 s52, 128                                 // coordOffset0 d0=1 vc0=0
_v_add_co_u32 v132, vcc, v128, s52                 // coord0.2: coord0 += d0*sg0*VW + vc0
v_cmp_lt_u32 s[52:53], v132, s[sgprSizeI]          // coord0 < size0
v_cmp_lt_u32 s[56:57], v129, s[sgprSizeJ]          // coord1 < size1
s_and_b64 s[56:57], s[52:53], s[56:57]             // in0 && in1
_v_add_lshl_u32 v194, v130, v132, 0x2              // scaleToBpe: accumulate d0 lower and *= bpe into Cin addr
v_cndmask_b32 v194, -1, v194, s[56:57]             // LDC clip if OOB. offset
_buffer_load_b32 v195, v194, s[sgprSrdC:sgprSrdC+3], 0, offen offset:0,  glc slc // load C for beta calc
_v_add_lshl_u32 v194, v131, v132, 0x2              // scaleToBpe: accumulate d0 lower and *= bpe into Cin addr
v_cndmask_b32 v194, -1, v194, s[56:57]             // LDD clip if OOB. offset
/* (d1,vc1,d0,vc0)=(12,0,0,0) */
_v_add_co_u32 v129, vcc, v129, 5                   // coord1.1: coord1Vgpr += d1*sg1*VW + vc1

/* Fix for UseInitialStridesCD, emitAddressSetupCode */
s_mul_i32 s52, s[sgprStrideC1J], 5                 // scale stride
_v_add_u32 v130, v130, s52                         // ROWINC- Move cinRowPtr to next row
s_mul_i32 s52, s[sgprStrideD1J], 5                 // scale stride
_v_add_u32 v131, v131, s52                         // Move coutRowPtr to next row
v_cmp_lt_u32 s[52:53], v128, s[sgprSizeI]          // coord0 < size0
v_cmp_lt_u32 s[56:57], v129, s[sgprSizeJ]          // coord1 < size1
s_and_b64 s[56:57], s[52:53], s[56:57]             // in0 && in1
_v_add_lshl_u32 v197, v130, v128, 0x2              // scaleToBpe: accumulate d0 lower and *= bpe into Cin addr
v_cndmask_b32 v197, -1, v197, s[56:57]             // LDC clip if OOB. offset
_buffer_load_b32 v198, v197, s[sgprSrdC:sgprSrdC+3], 0, offen offset:0,  glc slc // load C for beta calc
_v_add_lshl_u32 v197, v131, v128, 0x2              // scaleToBpe: accumulate d0 lower and *= bpe into Cin addr
v_cndmask_b32 v197, -1, v197, s[56:57]             // LDD clip if OOB. offset
/* (d1,vc1,d0,vc0)=(12,0,1,0) */
s_mov_b32 s52, 128                                 // coordOffset0 d0=1 vc0=0
_v_add_co_u32 v132, vcc, v128, s52                 // coord0.2: coord0 += d0*sg0*VW + vc0
v_cmp_lt_u32 s[52:53], v132, s[sgprSizeI]          // coord0 < size0
v_cmp_lt_u32 s[56:57], v129, s[sgprSizeJ]          // coord1 < size1
s_and_b64 s[56:57], s[52:53], s[56:57]             // in0 && in1
_v_add_lshl_u32 v200, v130, v132, 0x2              // scaleToBpe: accumulate d0 lower and *= bpe into Cin addr
v_cndmask_b32 v200, -1, v200, s[56:57]             // LDC clip if OOB. offset
_buffer_load_b32 v201, v200, s[sgprSrdC:sgprSrdC+3], 0, offen offset:0,  glc slc // load C for beta calc
_v_add_lshl_u32 v200, v131, v132, 0x2              // scaleToBpe: accumulate d0 lower and *= bpe into Cin addr
v_cndmask_b32 v200, -1, v200, s[56:57]             // LDD clip if OOB. offset
/* (d1,vc1,d0,vc0)=(12,1,0,0) */
_v_add_co_u32 v129, vcc, v129, 1                   // coord1.1: coord1Vgpr += d1*sg1*VW + vc1

/* Fix for UseInitialStridesCD, emitAddressSetupCode */
_v_add_u32 v130, v130, s[sgprStrideC1J]            // ROWINC- Move cinRowPtr to next row
_v_add_u32 v131, v131, s[sgprStrideD1J]            // Move coutRowPtr to next row
v_cmp_lt_u32 s[52:53], v128, s[sgprSizeI]          // coord0 < size0
v_cmp_lt_u32 s[56:57], v129, s[sgprSizeJ]          // coord1 < size1
s_and_b64 s[56:57], s[52:53], s[56:57]             // in0 && in1
_v_add_lshl_u32 v203, v130, v128, 0x2              // scaleToBpe: accumulate d0 lower and *= bpe into Cin addr
v_cndmask_b32 v203, -1, v203, s[56:57]             // LDC clip if OOB. offset
_buffer_load_b32 v204, v203, s[sgprSrdC:sgprSrdC+3], 0, offen offset:0,  glc slc // load C for beta calc
_v_add_lshl_u32 v203, v131, v128, 0x2              // scaleToBpe: accumulate d0 lower and *= bpe into Cin addr
v_cndmask_b32 v203, -1, v203, s[56:57]             // LDD clip if OOB. offset
/* (d1,vc1,d0,vc0)=(12,1,1,0) */
s_mov_b32 s52, 128                                 // coordOffset0 d0=1 vc0=0
_v_add_co_u32 v132, vcc, v128, s52                 // coord0.2: coord0 += d0*sg0*VW + vc0
v_cmp_lt_u32 s[52:53], v132, s[sgprSizeI]          // coord0 < size0
v_cmp_lt_u32 s[56:57], v129, s[sgprSizeJ]          // coord1 < size1
s_and_b64 s[56:57], s[52:53], s[56:57]             // in0 && in1
_v_add_lshl_u32 v206, v130, v132, 0x2              // scaleToBpe: accumulate d0 lower and *= bpe into Cin addr
v_cndmask_b32 v206, -1, v206, s[56:57]             // LDC clip if OOB. offset
_buffer_load_b32 v207, v206, s[sgprSrdC:sgprSrdC+3], 0, offen offset:0,  glc slc // load C for beta calc
_v_add_lshl_u32 v206, v131, v132, 0x2              // scaleToBpe: accumulate d0 lower and *= bpe into Cin addr
v_cndmask_b32 v206, -1, v206, s[56:57]             // LDD clip if OOB. offset
/* (d1,vc1,d0,vc0)=(12,2,0,0) */
_v_add_co_u32 v129, vcc, v129, 1                   // coord1.1: coord1Vgpr += d1*sg1*VW + vc1

/* Fix for UseInitialStridesCD, emitAddressSetupCode */
_v_add_u32 v130, v130, s[sgprStrideC1J]            // ROWINC- Move cinRowPtr to next row
_v_add_u32 v131, v131, s[sgprStrideD1J]            // Move coutRowPtr to next row
	;; [unrolled: 25-line block ×3, first 2 shown]
v_cmp_lt_u32 s[52:53], v128, s[sgprSizeI]          // coord0 < size0
v_cmp_lt_u32 s[56:57], v129, s[sgprSizeJ]          // coord1 < size1
s_and_b64 s[56:57], s[52:53], s[56:57]             // in0 && in1
_v_add_lshl_u32 v215, v130, v128, 0x2              // scaleToBpe: accumulate d0 lower and *= bpe into Cin addr
v_cndmask_b32 v215, -1, v215, s[56:57]             // LDC clip if OOB. offset
_buffer_load_b32 v216, v215, s[sgprSrdC:sgprSrdC+3], 0, offen offset:0,  glc slc // load C for beta calc
_v_add_lshl_u32 v215, v131, v128, 0x2              // scaleToBpe: accumulate d0 lower and *= bpe into Cin addr
v_cndmask_b32 v215, -1, v215, s[56:57]             // LDD clip if OOB. offset
/* (d1,vc1,d0,vc0)=(12,3,1,0) */
s_mov_b32 s52, 128                                 // coordOffset0 d0=1 vc0=0
_v_add_co_u32 v132, vcc, v128, s52                 // coord0.2: coord0 += d0*sg0*VW + vc0
v_cmp_lt_u32 s[52:53], v132, s[sgprSizeI]          // coord0 < size0
v_cmp_lt_u32 s[56:57], v129, s[sgprSizeJ]          // coord1 < size1
s_and_b64 s[56:57], s[52:53], s[56:57]             // in0 && in1
_v_add_lshl_u32 v218, v130, v132, 0x2              // scaleToBpe: accumulate d0 lower and *= bpe into Cin addr
v_cndmask_b32 v218, -1, v218, s[56:57]             // LDC clip if OOB. offset
_buffer_load_b32 v219, v218, s[sgprSrdC:sgprSrdC+3], 0, offen offset:0,  glc slc // load C for beta calc
_v_add_lshl_u32 v218, v131, v132, 0x2              // scaleToBpe: accumulate d0 lower and *= bpe into Cin addr
v_cndmask_b32 v218, -1, v218, s[56:57]             // LDD clip if OOB. offset
/* (d1,vc1,d0,vc0)=(13,0,0,0) */
_v_add_co_u32 v129, vcc, v129, 5                   // coord1.1: coord1Vgpr += d1*sg1*VW + vc1

/* Fix for UseInitialStridesCD, emitAddressSetupCode */
s_mul_i32 s52, s[sgprStrideC1J], 5                 // scale stride
_v_add_u32 v130, v130, s52                         // ROWINC- Move cinRowPtr to next row
s_mul_i32 s52, s[sgprStrideD1J], 5                 // scale stride
_v_add_u32 v131, v131, s52                         // Move coutRowPtr to next row
v_cmp_lt_u32 s[52:53], v128, s[sgprSizeI]          // coord0 < size0
v_cmp_lt_u32 s[56:57], v129, s[sgprSizeJ]          // coord1 < size1
s_and_b64 s[56:57], s[52:53], s[56:57]             // in0 && in1
_v_add_lshl_u32 v221, v130, v128, 0x2              // scaleToBpe: accumulate d0 lower and *= bpe into Cin addr
v_cndmask_b32 v221, -1, v221, s[56:57]             // LDC clip if OOB. offset
_buffer_load_b32 v222, v221, s[sgprSrdC:sgprSrdC+3], 0, offen offset:0,  glc slc // load C for beta calc
_v_add_lshl_u32 v221, v131, v128, 0x2              // scaleToBpe: accumulate d0 lower and *= bpe into Cin addr
v_cndmask_b32 v221, -1, v221, s[56:57]             // LDD clip if OOB. offset
/* (d1,vc1,d0,vc0)=(13,0,1,0) */
s_mov_b32 s52, 128                                 // coordOffset0 d0=1 vc0=0
_v_add_co_u32 v132, vcc, v128, s52                 // coord0.2: coord0 += d0*sg0*VW + vc0
v_cmp_lt_u32 s[52:53], v132, s[sgprSizeI]          // coord0 < size0
v_cmp_lt_u32 s[56:57], v129, s[sgprSizeJ]          // coord1 < size1
s_and_b64 s[56:57], s[52:53], s[56:57]             // in0 && in1
_v_add_lshl_u32 v224, v130, v132, 0x2              // scaleToBpe: accumulate d0 lower and *= bpe into Cin addr
v_cndmask_b32 v224, -1, v224, s[56:57]             // LDC clip if OOB. offset
_buffer_load_b32 v225, v224, s[sgprSrdC:sgprSrdC+3], 0, offen offset:0,  glc slc // load C for beta calc
_v_add_lshl_u32 v224, v131, v132, 0x2              // scaleToBpe: accumulate d0 lower and *= bpe into Cin addr
v_cndmask_b32 v224, -1, v224, s[56:57]             // LDD clip if OOB. offset
/* (d1,vc1,d0,vc0)=(13,1,0,0) */
_v_add_co_u32 v129, vcc, v129, 1                   // coord1.1: coord1Vgpr += d1*sg1*VW + vc1

/* Fix for UseInitialStridesCD, emitAddressSetupCode */
_v_add_u32 v130, v130, s[sgprStrideC1J]            // ROWINC- Move cinRowPtr to next row
_v_add_u32 v131, v131, s[sgprStrideD1J]            // Move coutRowPtr to next row
v_cmp_lt_u32 s[52:53], v128, s[sgprSizeI]          // coord0 < size0
v_cmp_lt_u32 s[56:57], v129, s[sgprSizeJ]          // coord1 < size1
s_and_b64 s[56:57], s[52:53], s[56:57]             // in0 && in1
_v_add_lshl_u32 v227, v130, v128, 0x2              // scaleToBpe: accumulate d0 lower and *= bpe into Cin addr
v_cndmask_b32 v227, -1, v227, s[56:57]             // LDC clip if OOB. offset
_buffer_load_b32 v228, v227, s[sgprSrdC:sgprSrdC+3], 0, offen offset:0,  glc slc // load C for beta calc
_v_add_lshl_u32 v227, v131, v128, 0x2              // scaleToBpe: accumulate d0 lower and *= bpe into Cin addr
v_cndmask_b32 v227, -1, v227, s[56:57]             // LDD clip if OOB. offset
/* (d1,vc1,d0,vc0)=(13,1,1,0) */
s_mov_b32 s52, 128                                 // coordOffset0 d0=1 vc0=0
_v_add_co_u32 v132, vcc, v128, s52                 // coord0.2: coord0 += d0*sg0*VW + vc0
v_cmp_lt_u32 s[52:53], v132, s[sgprSizeI]          // coord0 < size0
v_cmp_lt_u32 s[56:57], v129, s[sgprSizeJ]          // coord1 < size1
s_and_b64 s[56:57], s[52:53], s[56:57]             // in0 && in1
_v_add_lshl_u32 v230, v130, v132, 0x2              // scaleToBpe: accumulate d0 lower and *= bpe into Cin addr
v_cndmask_b32 v230, -1, v230, s[56:57]             // LDC clip if OOB. offset
_buffer_load_b32 v231, v230, s[sgprSrdC:sgprSrdC+3], 0, offen offset:0,  glc slc // load C for beta calc
_v_add_lshl_u32 v230, v131, v132, 0x2              // scaleToBpe: accumulate d0 lower and *= bpe into Cin addr
v_cndmask_b32 v230, -1, v230, s[56:57]             // LDD clip if OOB. offset
/* (d1,vc1,d0,vc0)=(13,2,0,0) */
_v_add_co_u32 v129, vcc, v129, 1                   // coord1.1: coord1Vgpr += d1*sg1*VW + vc1

/* Fix for UseInitialStridesCD, emitAddressSetupCode */
_v_add_u32 v130, v130, s[sgprStrideC1J]            // ROWINC- Move cinRowPtr to next row
_v_add_u32 v131, v131, s[sgprStrideD1J]            // Move coutRowPtr to next row
	;; [unrolled: 25-line block ×3, first 2 shown]
v_cmp_lt_u32 s[52:53], v128, s[sgprSizeI]          // coord0 < size0
v_cmp_lt_u32 s[56:57], v129, s[sgprSizeJ]          // coord1 < size1
s_and_b64 s[56:57], s[52:53], s[56:57]             // in0 && in1
_v_add_lshl_u32 v239, v130, v128, 0x2              // scaleToBpe: accumulate d0 lower and *= bpe into Cin addr
v_cndmask_b32 v239, -1, v239, s[56:57]             // LDC clip if OOB. offset
_buffer_load_b32 v240, v239, s[sgprSrdC:sgprSrdC+3], 0, offen offset:0,  glc slc // load C for beta calc
_v_add_lshl_u32 v239, v131, v128, 0x2              // scaleToBpe: accumulate d0 lower and *= bpe into Cin addr
v_cndmask_b32 v239, -1, v239, s[56:57]             // LDD clip if OOB. offset
/* (d1,vc1,d0,vc0)=(13,3,1,0) */
s_mov_b32 s52, 128                                 // coordOffset0 d0=1 vc0=0
_v_add_co_u32 v132, vcc, v128, s52                 // coord0.2: coord0 += d0*sg0*VW + vc0
v_cmp_lt_u32 s[52:53], v132, s[sgprSizeI]          // coord0 < size0
v_cmp_lt_u32 s[56:57], v129, s[sgprSizeJ]          // coord1 < size1
s_and_b64 s[56:57], s[52:53], s[56:57]             // in0 && in1
_v_add_lshl_u32 v242, v130, v132, 0x2              // scaleToBpe: accumulate d0 lower and *= bpe into Cin addr
v_cndmask_b32 v242, -1, v242, s[56:57]             // LDC clip if OOB. offset
_buffer_load_b32 v243, v242, s[sgprSrdC:sgprSrdC+3], 0, offen offset:0,  glc slc // load C for beta calc
_v_add_lshl_u32 v242, v131, v132, 0x2              // scaleToBpe: accumulate d0 lower and *= bpe into Cin addr
v_cndmask_b32 v242, -1, v242, s[56:57]             // LDD clip if OOB. offset
/* (d1,vc1,d0,vc0)=(14,0,0,0) */
_v_add_co_u32 v129, vcc, v129, 5                   // coord1.1: coord1Vgpr += d1*sg1*VW + vc1

/* Fix for UseInitialStridesCD, emitAddressSetupCode */
s_mul_i32 s52, s[sgprStrideC1J], 5                 // scale stride
_v_add_u32 v130, v130, s52                         // ROWINC- Move cinRowPtr to next row
s_mul_i32 s52, s[sgprStrideD1J], 5                 // scale stride
_v_add_u32 v131, v131, s52                         // Move coutRowPtr to next row
v_cmp_lt_u32 s[52:53], v128, s[sgprSizeI]          // coord0 < size0
v_cmp_lt_u32 s[56:57], v129, s[sgprSizeJ]          // coord1 < size1
s_and_b64 s[56:57], s[52:53], s[56:57]             // in0 && in1
_v_add_lshl_u32 v245, v130, v128, 0x2              // scaleToBpe: accumulate d0 lower and *= bpe into Cin addr
v_cndmask_b32 v245, -1, v245, s[56:57]             // LDC clip if OOB. offset
_buffer_load_b32 v246, v245, s[sgprSrdC:sgprSrdC+3], 0, offen offset:0,  glc slc // load C for beta calc
_v_add_lshl_u32 v245, v131, v128, 0x2              // scaleToBpe: accumulate d0 lower and *= bpe into Cin addr
v_cndmask_b32 v245, -1, v245, s[56:57]             // LDD clip if OOB. offset
/* (d1,vc1,d0,vc0)=(14,0,1,0) */
s_mov_b32 s52, 128                                 // coordOffset0 d0=1 vc0=0
_v_add_co_u32 v132, vcc, v128, s52                 // coord0.2: coord0 += d0*sg0*VW + vc0
v_cmp_lt_u32 s[52:53], v132, s[sgprSizeI]          // coord0 < size0
v_cmp_lt_u32 s[56:57], v129, s[sgprSizeJ]          // coord1 < size1
s_and_b64 s[56:57], s[52:53], s[56:57]             // in0 && in1
_v_add_lshl_u32 v248, v130, v132, 0x2              // scaleToBpe: accumulate d0 lower and *= bpe into Cin addr
v_cndmask_b32 v248, -1, v248, s[56:57]             // LDC clip if OOB. offset
_buffer_load_b32 v249, v248, s[sgprSrdC:sgprSrdC+3], 0, offen offset:0,  glc slc // load C for beta calc
_v_add_lshl_u32 v248, v131, v132, 0x2              // scaleToBpe: accumulate d0 lower and *= bpe into Cin addr
v_cndmask_b32 v248, -1, v248, s[56:57]             // LDD clip if OOB. offset
s_sleep 1 // optimization: sync and wait
s_barrier
s_waitcnt vmcnt(0)                                 // wait C

/* apply mask, calc new C and issue writes */
_v_mac_f32 v[vgprValuC+136], v135, s[sgprBeta]     // finalSum = sum*alpha + C*beta
_buffer_store_b32 v136, v134, s[sgprSrdD:sgprSrdD+3], 0, offen, offset:0,  glc slc // store D
_v_mac_f32 v[vgprValuC+139], v138, s[sgprBeta]     // finalSum = sum*alpha + C*beta
_buffer_store_b32 v139, v137, s[sgprSrdD:sgprSrdD+3], 0, offen, offset:0,  glc slc // store D
	;; [unrolled: 2-line block ×38, first 2 shown]
s_nop 0                                            // 1 wait state required when next inst writes vgprs held by previous dwordx4 store inst
/* optSingleColVgpr=0 optSharedColVgpr=0 optSGPRUsage=BufferLoad_Edge_Mask optSrdIncForRow=0 */
s_sleep 1 // optimization: sync and wait
s_barrier

/******************************************/
/* Global Write Alpha Beta Edge Batch #3 (d1,d0,vc1,vc0) = */
/*    (14,0,1,0:vw1); (14,1,1,0:vw1); (14,0,2,0:vw1); (14,1,2,0:vw1); (14,0,3,0:vw1); (14,1,3,0:vw1); (15,0,0,0:vw1); (15,1,0,0:vw1); (15,0,1,0:vw1); (15,1,1,0:vw1); (15,0,2,0:vw1); (15,1,2,0:vw1); (15,0,3,0:vw1); (15,1,3,0:vw1) */
/******************************************/

/* calc coords, apply mask, and issue loads (if necessary) */

/* rC *= alpha batchElements=[(14, 0, 1, 0), (14, 1, 1, 0), (14, 0, 2, 0), (14, 1, 2, 0), (14, 0, 3, 0), (14, 1, 3, 0), (15, 0, 0, 0), (15, 1, 0, 0), (15, 0, 1, 0), (15, 1, 1, 0), (15, 0, 2, 0), (15, 1, 2, 0), (15, 0, 3, 0), (15, 1, 3, 0)] */
v_mul_f32 v[vgprValuC+136], s[sgprAlpha], v[vgprValuC+105] // Multiply MI out reg with alpha
v_mul_f32 v[vgprValuC+139], s[sgprAlpha], v[vgprValuC+121] // Multiply MI out reg with alpha
	;; [unrolled: 1-line block ×14, first 2 shown]
/* (d1,vc1,d0,vc0)=(14,1,0,0) */
_v_add_co_u32 v129, vcc, v129, 1                   // coord1.1: coord1Vgpr += d1*sg1*VW + vc1

/* Fix for UseInitialStridesCD, emitAddressSetupCode */
_v_add_u32 v130, v130, s[sgprStrideC1J]            // ROWINC- Move cinRowPtr to next row
_v_add_u32 v131, v131, s[sgprStrideD1J]            // Move coutRowPtr to next row
v_cmp_lt_u32 s[52:53], v128, s[sgprSizeI]          // coord0 < size0
v_cmp_lt_u32 s[56:57], v129, s[sgprSizeJ]          // coord1 < size1
s_and_b64 s[56:57], s[52:53], s[56:57]             // in0 && in1
_v_add_lshl_u32 v134, v130, v128, 0x2              // scaleToBpe: accumulate d0 lower and *= bpe into Cin addr
v_cndmask_b32 v134, -1, v134, s[56:57]             // LDC clip if OOB. offset
_buffer_load_b32 v135, v134, s[sgprSrdC:sgprSrdC+3], 0, offen offset:0,  glc slc // load C for beta calc
_v_add_lshl_u32 v134, v131, v128, 0x2              // scaleToBpe: accumulate d0 lower and *= bpe into Cin addr
v_cndmask_b32 v134, -1, v134, s[56:57]             // LDD clip if OOB. offset
/* (d1,vc1,d0,vc0)=(14,1,1,0) */
s_mov_b32 s52, 128                                 // coordOffset0 d0=1 vc0=0
_v_add_co_u32 v132, vcc, v128, s52                 // coord0.2: coord0 += d0*sg0*VW + vc0
v_cmp_lt_u32 s[52:53], v132, s[sgprSizeI]          // coord0 < size0
v_cmp_lt_u32 s[56:57], v129, s[sgprSizeJ]          // coord1 < size1
s_and_b64 s[56:57], s[52:53], s[56:57]             // in0 && in1
_v_add_lshl_u32 v137, v130, v132, 0x2              // scaleToBpe: accumulate d0 lower and *= bpe into Cin addr
v_cndmask_b32 v137, -1, v137, s[56:57]             // LDC clip if OOB. offset
_buffer_load_b32 v138, v137, s[sgprSrdC:sgprSrdC+3], 0, offen offset:0,  glc slc // load C for beta calc
_v_add_lshl_u32 v137, v131, v132, 0x2              // scaleToBpe: accumulate d0 lower and *= bpe into Cin addr
v_cndmask_b32 v137, -1, v137, s[56:57]             // LDD clip if OOB. offset
/* (d1,vc1,d0,vc0)=(14,2,0,0) */
_v_add_co_u32 v129, vcc, v129, 1                   // coord1.1: coord1Vgpr += d1*sg1*VW + vc1

/* Fix for UseInitialStridesCD, emitAddressSetupCode */
_v_add_u32 v130, v130, s[sgprStrideC1J]            // ROWINC- Move cinRowPtr to next row
_v_add_u32 v131, v131, s[sgprStrideD1J]            // Move coutRowPtr to next row
v_cmp_lt_u32 s[52:53], v128, s[sgprSizeI]          // coord0 < size0
v_cmp_lt_u32 s[56:57], v129, s[sgprSizeJ]          // coord1 < size1
s_and_b64 s[56:57], s[52:53], s[56:57]             // in0 && in1
_v_add_lshl_u32 v140, v130, v128, 0x2              // scaleToBpe: accumulate d0 lower and *= bpe into Cin addr
v_cndmask_b32 v140, -1, v140, s[56:57]             // LDC clip if OOB. offset
_buffer_load_b32 v141, v140, s[sgprSrdC:sgprSrdC+3], 0, offen offset:0,  glc slc // load C for beta calc
_v_add_lshl_u32 v140, v131, v128, 0x2              // scaleToBpe: accumulate d0 lower and *= bpe into Cin addr
v_cndmask_b32 v140, -1, v140, s[56:57]             // LDD clip if OOB. offset
/* (d1,vc1,d0,vc0)=(14,2,1,0) */
s_mov_b32 s52, 128                                 // coordOffset0 d0=1 vc0=0
_v_add_co_u32 v132, vcc, v128, s52                 // coord0.2: coord0 += d0*sg0*VW + vc0
v_cmp_lt_u32 s[52:53], v132, s[sgprSizeI]          // coord0 < size0
v_cmp_lt_u32 s[56:57], v129, s[sgprSizeJ]          // coord1 < size1
s_and_b64 s[56:57], s[52:53], s[56:57]             // in0 && in1
_v_add_lshl_u32 v143, v130, v132, 0x2              // scaleToBpe: accumulate d0 lower and *= bpe into Cin addr
v_cndmask_b32 v143, -1, v143, s[56:57]             // LDC clip if OOB. offset
_buffer_load_b32 v144, v143, s[sgprSrdC:sgprSrdC+3], 0, offen offset:0,  glc slc // load C for beta calc
_v_add_lshl_u32 v143, v131, v132, 0x2              // scaleToBpe: accumulate d0 lower and *= bpe into Cin addr
v_cndmask_b32 v143, -1, v143, s[56:57]             // LDD clip if OOB. offset
/* (d1,vc1,d0,vc0)=(14,3,0,0) */
_v_add_co_u32 v129, vcc, v129, 1                   // coord1.1: coord1Vgpr += d1*sg1*VW + vc1

/* Fix for UseInitialStridesCD, emitAddressSetupCode */
_v_add_u32 v130, v130, s[sgprStrideC1J]            // ROWINC- Move cinRowPtr to next row
_v_add_u32 v131, v131, s[sgprStrideD1J]            // Move coutRowPtr to next row
v_cmp_lt_u32 s[52:53], v128, s[sgprSizeI]          // coord0 < size0
v_cmp_lt_u32 s[56:57], v129, s[sgprSizeJ]          // coord1 < size1
s_and_b64 s[56:57], s[52:53], s[56:57]             // in0 && in1
_v_add_lshl_u32 v146, v130, v128, 0x2              // scaleToBpe: accumulate d0 lower and *= bpe into Cin addr
v_cndmask_b32 v146, -1, v146, s[56:57]             // LDC clip if OOB. offset
_buffer_load_b32 v147, v146, s[sgprSrdC:sgprSrdC+3], 0, offen offset:0,  glc slc // load C for beta calc
_v_add_lshl_u32 v146, v131, v128, 0x2              // scaleToBpe: accumulate d0 lower and *= bpe into Cin addr
v_cndmask_b32 v146, -1, v146, s[56:57]             // LDD clip if OOB. offset
/* (d1,vc1,d0,vc0)=(14,3,1,0) */
s_mov_b32 s52, 128                                 // coordOffset0 d0=1 vc0=0
_v_add_co_u32 v132, vcc, v128, s52                 // coord0.2: coord0 += d0*sg0*VW + vc0
v_cmp_lt_u32 s[52:53], v132, s[sgprSizeI]          // coord0 < size0
v_cmp_lt_u32 s[56:57], v129, s[sgprSizeJ]          // coord1 < size1
s_and_b64 s[56:57], s[52:53], s[56:57]             // in0 && in1
_v_add_lshl_u32 v149, v130, v132, 0x2              // scaleToBpe: accumulate d0 lower and *= bpe into Cin addr
v_cndmask_b32 v149, -1, v149, s[56:57]             // LDC clip if OOB. offset
_buffer_load_b32 v150, v149, s[sgprSrdC:sgprSrdC+3], 0, offen offset:0,  glc slc // load C for beta calc
_v_add_lshl_u32 v149, v131, v132, 0x2              // scaleToBpe: accumulate d0 lower and *= bpe into Cin addr
v_cndmask_b32 v149, -1, v149, s[56:57]             // LDD clip if OOB. offset
/* (d1,vc1,d0,vc0)=(15,0,0,0) */
_v_add_co_u32 v129, vcc, v129, 5                   // coord1.1: coord1Vgpr += d1*sg1*VW + vc1

/* Fix for UseInitialStridesCD, emitAddressSetupCode */
s_mul_i32 s52, s[sgprStrideC1J], 5                 // scale stride
_v_add_u32 v130, v130, s52                         // ROWINC- Move cinRowPtr to next row
s_mul_i32 s52, s[sgprStrideD1J], 5                 // scale stride
_v_add_u32 v131, v131, s52                         // Move coutRowPtr to next row
v_cmp_lt_u32 s[52:53], v128, s[sgprSizeI]          // coord0 < size0
v_cmp_lt_u32 s[56:57], v129, s[sgprSizeJ]          // coord1 < size1
s_and_b64 s[56:57], s[52:53], s[56:57]             // in0 && in1
_v_add_lshl_u32 v152, v130, v128, 0x2              // scaleToBpe: accumulate d0 lower and *= bpe into Cin addr
v_cndmask_b32 v152, -1, v152, s[56:57]             // LDC clip if OOB. offset
_buffer_load_b32 v153, v152, s[sgprSrdC:sgprSrdC+3], 0, offen offset:0,  glc slc // load C for beta calc
_v_add_lshl_u32 v152, v131, v128, 0x2              // scaleToBpe: accumulate d0 lower and *= bpe into Cin addr
v_cndmask_b32 v152, -1, v152, s[56:57]             // LDD clip if OOB. offset
/* (d1,vc1,d0,vc0)=(15,0,1,0) */
s_mov_b32 s52, 128                                 // coordOffset0 d0=1 vc0=0
_v_add_co_u32 v132, vcc, v128, s52                 // coord0.2: coord0 += d0*sg0*VW + vc0
v_cmp_lt_u32 s[52:53], v132, s[sgprSizeI]          // coord0 < size0
v_cmp_lt_u32 s[56:57], v129, s[sgprSizeJ]          // coord1 < size1
s_and_b64 s[56:57], s[52:53], s[56:57]             // in0 && in1
_v_add_lshl_u32 v155, v130, v132, 0x2              // scaleToBpe: accumulate d0 lower and *= bpe into Cin addr
v_cndmask_b32 v155, -1, v155, s[56:57]             // LDC clip if OOB. offset
_buffer_load_b32 v156, v155, s[sgprSrdC:sgprSrdC+3], 0, offen offset:0,  glc slc // load C for beta calc
_v_add_lshl_u32 v155, v131, v132, 0x2              // scaleToBpe: accumulate d0 lower and *= bpe into Cin addr
v_cndmask_b32 v155, -1, v155, s[56:57]             // LDD clip if OOB. offset
/* (d1,vc1,d0,vc0)=(15,1,0,0) */
_v_add_co_u32 v129, vcc, v129, 1                   // coord1.1: coord1Vgpr += d1*sg1*VW + vc1

/* Fix for UseInitialStridesCD, emitAddressSetupCode */
_v_add_u32 v130, v130, s[sgprStrideC1J]            // ROWINC- Move cinRowPtr to next row
_v_add_u32 v131, v131, s[sgprStrideD1J]            // Move coutRowPtr to next row
v_cmp_lt_u32 s[52:53], v128, s[sgprSizeI]          // coord0 < size0
v_cmp_lt_u32 s[56:57], v129, s[sgprSizeJ]          // coord1 < size1
s_and_b64 s[56:57], s[52:53], s[56:57]             // in0 && in1
_v_add_lshl_u32 v158, v130, v128, 0x2              // scaleToBpe: accumulate d0 lower and *= bpe into Cin addr
v_cndmask_b32 v158, -1, v158, s[56:57]             // LDC clip if OOB. offset
_buffer_load_b32 v159, v158, s[sgprSrdC:sgprSrdC+3], 0, offen offset:0,  glc slc // load C for beta calc
_v_add_lshl_u32 v158, v131, v128, 0x2              // scaleToBpe: accumulate d0 lower and *= bpe into Cin addr
v_cndmask_b32 v158, -1, v158, s[56:57]             // LDD clip if OOB. offset
/* (d1,vc1,d0,vc0)=(15,1,1,0) */
s_mov_b32 s52, 128                                 // coordOffset0 d0=1 vc0=0
_v_add_co_u32 v132, vcc, v128, s52                 // coord0.2: coord0 += d0*sg0*VW + vc0
v_cmp_lt_u32 s[52:53], v132, s[sgprSizeI]          // coord0 < size0
v_cmp_lt_u32 s[56:57], v129, s[sgprSizeJ]          // coord1 < size1
s_and_b64 s[56:57], s[52:53], s[56:57]             // in0 && in1
_v_add_lshl_u32 v161, v130, v132, 0x2              // scaleToBpe: accumulate d0 lower and *= bpe into Cin addr
v_cndmask_b32 v161, -1, v161, s[56:57]             // LDC clip if OOB. offset
_buffer_load_b32 v162, v161, s[sgprSrdC:sgprSrdC+3], 0, offen offset:0,  glc slc // load C for beta calc
_v_add_lshl_u32 v161, v131, v132, 0x2              // scaleToBpe: accumulate d0 lower and *= bpe into Cin addr
v_cndmask_b32 v161, -1, v161, s[56:57]             // LDD clip if OOB. offset
/* (d1,vc1,d0,vc0)=(15,2,0,0) */
_v_add_co_u32 v129, vcc, v129, 1                   // coord1.1: coord1Vgpr += d1*sg1*VW + vc1

/* Fix for UseInitialStridesCD, emitAddressSetupCode */
_v_add_u32 v130, v130, s[sgprStrideC1J]            // ROWINC- Move cinRowPtr to next row
_v_add_u32 v131, v131, s[sgprStrideD1J]            // Move coutRowPtr to next row
	;; [unrolled: 25-line block ×3, first 2 shown]
v_cmp_lt_u32 s[52:53], v128, s[sgprSizeI]          // coord0 < size0
v_cmp_lt_u32 s[56:57], v129, s[sgprSizeJ]          // coord1 < size1
s_and_b64 s[56:57], s[52:53], s[56:57]             // in0 && in1
_v_add_lshl_u32 v173, v130, v128, 0x2              // scaleToBpe: accumulate d0 lower and *= bpe into Cin addr
v_cndmask_b32 v173, -1, v173, s[56:57]             // LDC clip if OOB. offset
_buffer_load_b32 v174, v173, s[sgprSrdC:sgprSrdC+3], 0, offen offset:0,  glc slc // load C for beta calc
_v_add_lshl_u32 v173, v131, v128, 0x2              // scaleToBpe: accumulate d0 lower and *= bpe into Cin addr
v_cndmask_b32 v173, -1, v173, s[56:57]             // LDD clip if OOB. offset
/* (d1,vc1,d0,vc0)=(15,3,1,0) */
s_mov_b32 s52, 128                                 // coordOffset0 d0=1 vc0=0
_v_add_co_u32 v132, vcc, v128, s52                 // coord0.2: coord0 += d0*sg0*VW + vc0
v_cmp_lt_u32 s[52:53], v132, s[sgprSizeI]          // coord0 < size0
v_cmp_lt_u32 s[56:57], v129, s[sgprSizeJ]          // coord1 < size1
s_and_b64 s[56:57], s[52:53], s[56:57]             // in0 && in1
_v_add_lshl_u32 v176, v130, v132, 0x2              // scaleToBpe: accumulate d0 lower and *= bpe into Cin addr
v_cndmask_b32 v176, -1, v176, s[56:57]             // LDC clip if OOB. offset
_buffer_load_b32 v177, v176, s[sgprSrdC:sgprSrdC+3], 0, offen offset:0,  glc slc // load C for beta calc
_v_add_lshl_u32 v176, v131, v132, 0x2              // scaleToBpe: accumulate d0 lower and *= bpe into Cin addr
v_cndmask_b32 v176, -1, v176, s[56:57]             // LDD clip if OOB. offset
s_sleep 1 // optimization: sync and wait
s_barrier
s_waitcnt vmcnt(0)                                 // wait C

/* apply mask, calc new C and issue writes */
_v_mac_f32 v[vgprValuC+136], v135, s[sgprBeta]     // finalSum = sum*alpha + C*beta
_buffer_store_b32 v136, v134, s[sgprSrdD:sgprSrdD+3], 0, offen, offset:0,  glc slc // store D
_v_mac_f32 v[vgprValuC+139], v138, s[sgprBeta]     // finalSum = sum*alpha + C*beta
_buffer_store_b32 v139, v137, s[sgprSrdD:sgprSrdD+3], 0, offen, offset:0,  glc slc // store D
	;; [unrolled: 2-line block ×14, first 2 shown]
s_nop 0                                            // 1 wait state required when next inst writes vgprs held by previous dwordx4 store inst
s_branch label_GW_End_348                          // jump to end
label_GW_End_348:

label_0353:  /// KernelEnd
s_endpgm                                           // Kernel End

